;; amdgpu-corpus repo=ROCm/rocFFT kind=compiled arch=gfx1201 opt=O3
	.text
	.amdgcn_target "amdgcn-amd-amdhsa--gfx1201"
	.amdhsa_code_object_version 6
	.protected	fft_rtc_back_len1155_factors_11_5_7_3_wgs_55_tpt_55_halfLds_sp_ip_CI_sbrr_dirReg ; -- Begin function fft_rtc_back_len1155_factors_11_5_7_3_wgs_55_tpt_55_halfLds_sp_ip_CI_sbrr_dirReg
	.globl	fft_rtc_back_len1155_factors_11_5_7_3_wgs_55_tpt_55_halfLds_sp_ip_CI_sbrr_dirReg
	.p2align	8
	.type	fft_rtc_back_len1155_factors_11_5_7_3_wgs_55_tpt_55_halfLds_sp_ip_CI_sbrr_dirReg,@function
fft_rtc_back_len1155_factors_11_5_7_3_wgs_55_tpt_55_halfLds_sp_ip_CI_sbrr_dirReg: ; @fft_rtc_back_len1155_factors_11_5_7_3_wgs_55_tpt_55_halfLds_sp_ip_CI_sbrr_dirReg
; %bb.0:
	s_clause 0x2
	s_load_b64 s[12:13], s[0:1], 0x18
	s_load_b128 s[4:7], s[0:1], 0x0
	s_load_b64 s[10:11], s[0:1], 0x50
	v_mul_u32_u24_e32 v1, 0x4a8, v0
	v_mov_b32_e32 v3, 0
	s_delay_alu instid0(VALU_DEP_2) | instskip(NEXT) | instid1(VALU_DEP_1)
	v_lshrrev_b32_e32 v1, 16, v1
	v_add_nc_u32_e32 v5, ttmp9, v1
	v_mov_b32_e32 v1, 0
	v_mov_b32_e32 v2, 0
	;; [unrolled: 1-line block ×3, first 2 shown]
	s_wait_kmcnt 0x0
	s_load_b64 s[8:9], s[12:13], 0x0
	v_cmp_lt_u64_e64 s2, s[6:7], 2
	s_delay_alu instid0(VALU_DEP_1)
	s_and_b32 vcc_lo, exec_lo, s2
	s_cbranch_vccnz .LBB0_8
; %bb.1:
	s_load_b64 s[2:3], s[0:1], 0x10
	v_mov_b32_e32 v1, 0
	v_mov_b32_e32 v2, 0
	s_add_nc_u64 s[14:15], s[12:13], 8
	s_mov_b64 s[16:17], 1
	s_wait_kmcnt 0x0
	s_add_nc_u64 s[18:19], s[2:3], 8
	s_mov_b32 s3, 0
.LBB0_2:                                ; =>This Inner Loop Header: Depth=1
	s_load_b64 s[20:21], s[18:19], 0x0
                                        ; implicit-def: $vgpr7_vgpr8
	s_mov_b32 s2, exec_lo
	s_wait_kmcnt 0x0
	v_or_b32_e32 v4, s21, v6
	s_delay_alu instid0(VALU_DEP_1)
	v_cmpx_ne_u64_e32 0, v[3:4]
	s_wait_alu 0xfffe
	s_xor_b32 s22, exec_lo, s2
	s_cbranch_execz .LBB0_4
; %bb.3:                                ;   in Loop: Header=BB0_2 Depth=1
	s_cvt_f32_u32 s2, s20
	s_cvt_f32_u32 s23, s21
	s_sub_nc_u64 s[26:27], 0, s[20:21]
	s_wait_alu 0xfffe
	s_delay_alu instid0(SALU_CYCLE_1) | instskip(SKIP_1) | instid1(SALU_CYCLE_2)
	s_fmamk_f32 s2, s23, 0x4f800000, s2
	s_wait_alu 0xfffe
	v_s_rcp_f32 s2, s2
	s_delay_alu instid0(TRANS32_DEP_1) | instskip(SKIP_1) | instid1(SALU_CYCLE_2)
	s_mul_f32 s2, s2, 0x5f7ffffc
	s_wait_alu 0xfffe
	s_mul_f32 s23, s2, 0x2f800000
	s_wait_alu 0xfffe
	s_delay_alu instid0(SALU_CYCLE_2) | instskip(SKIP_1) | instid1(SALU_CYCLE_2)
	s_trunc_f32 s23, s23
	s_wait_alu 0xfffe
	s_fmamk_f32 s2, s23, 0xcf800000, s2
	s_cvt_u32_f32 s25, s23
	s_wait_alu 0xfffe
	s_delay_alu instid0(SALU_CYCLE_1) | instskip(SKIP_1) | instid1(SALU_CYCLE_2)
	s_cvt_u32_f32 s24, s2
	s_wait_alu 0xfffe
	s_mul_u64 s[28:29], s[26:27], s[24:25]
	s_wait_alu 0xfffe
	s_mul_hi_u32 s31, s24, s29
	s_mul_i32 s30, s24, s29
	s_mul_hi_u32 s2, s24, s28
	s_mul_i32 s33, s25, s28
	s_wait_alu 0xfffe
	s_add_nc_u64 s[30:31], s[2:3], s[30:31]
	s_mul_hi_u32 s23, s25, s28
	s_mul_hi_u32 s34, s25, s29
	s_add_co_u32 s2, s30, s33
	s_wait_alu 0xfffe
	s_add_co_ci_u32 s2, s31, s23
	s_mul_i32 s28, s25, s29
	s_add_co_ci_u32 s29, s34, 0
	s_wait_alu 0xfffe
	s_add_nc_u64 s[28:29], s[2:3], s[28:29]
	s_wait_alu 0xfffe
	v_add_co_u32 v4, s2, s24, s28
	s_delay_alu instid0(VALU_DEP_1) | instskip(SKIP_1) | instid1(VALU_DEP_1)
	s_cmp_lg_u32 s2, 0
	s_add_co_ci_u32 s25, s25, s29
	v_readfirstlane_b32 s24, v4
	s_wait_alu 0xfffe
	s_delay_alu instid0(VALU_DEP_1)
	s_mul_u64 s[26:27], s[26:27], s[24:25]
	s_wait_alu 0xfffe
	s_mul_hi_u32 s29, s24, s27
	s_mul_i32 s28, s24, s27
	s_mul_hi_u32 s2, s24, s26
	s_mul_i32 s30, s25, s26
	s_wait_alu 0xfffe
	s_add_nc_u64 s[28:29], s[2:3], s[28:29]
	s_mul_hi_u32 s23, s25, s26
	s_mul_hi_u32 s24, s25, s27
	s_wait_alu 0xfffe
	s_add_co_u32 s2, s28, s30
	s_add_co_ci_u32 s2, s29, s23
	s_mul_i32 s26, s25, s27
	s_add_co_ci_u32 s27, s24, 0
	s_wait_alu 0xfffe
	s_add_nc_u64 s[26:27], s[2:3], s[26:27]
	s_wait_alu 0xfffe
	v_add_co_u32 v4, s2, v4, s26
	s_delay_alu instid0(VALU_DEP_1) | instskip(SKIP_1) | instid1(VALU_DEP_1)
	s_cmp_lg_u32 s2, 0
	s_add_co_ci_u32 s2, s25, s27
	v_mul_hi_u32 v13, v5, v4
	s_wait_alu 0xfffe
	v_mad_co_u64_u32 v[7:8], null, v5, s2, 0
	v_mad_co_u64_u32 v[9:10], null, v6, v4, 0
	;; [unrolled: 1-line block ×3, first 2 shown]
	s_delay_alu instid0(VALU_DEP_3) | instskip(SKIP_1) | instid1(VALU_DEP_4)
	v_add_co_u32 v4, vcc_lo, v13, v7
	s_wait_alu 0xfffd
	v_add_co_ci_u32_e32 v7, vcc_lo, 0, v8, vcc_lo
	s_delay_alu instid0(VALU_DEP_2) | instskip(SKIP_1) | instid1(VALU_DEP_2)
	v_add_co_u32 v4, vcc_lo, v4, v9
	s_wait_alu 0xfffd
	v_add_co_ci_u32_e32 v4, vcc_lo, v7, v10, vcc_lo
	s_wait_alu 0xfffd
	v_add_co_ci_u32_e32 v7, vcc_lo, 0, v12, vcc_lo
	s_delay_alu instid0(VALU_DEP_2) | instskip(SKIP_1) | instid1(VALU_DEP_2)
	v_add_co_u32 v4, vcc_lo, v4, v11
	s_wait_alu 0xfffd
	v_add_co_ci_u32_e32 v9, vcc_lo, 0, v7, vcc_lo
	s_delay_alu instid0(VALU_DEP_2) | instskip(SKIP_1) | instid1(VALU_DEP_3)
	v_mul_lo_u32 v10, s21, v4
	v_mad_co_u64_u32 v[7:8], null, s20, v4, 0
	v_mul_lo_u32 v11, s20, v9
	s_delay_alu instid0(VALU_DEP_2) | instskip(NEXT) | instid1(VALU_DEP_2)
	v_sub_co_u32 v7, vcc_lo, v5, v7
	v_add3_u32 v8, v8, v11, v10
	s_delay_alu instid0(VALU_DEP_1) | instskip(SKIP_1) | instid1(VALU_DEP_1)
	v_sub_nc_u32_e32 v10, v6, v8
	s_wait_alu 0xfffd
	v_subrev_co_ci_u32_e64 v10, s2, s21, v10, vcc_lo
	v_add_co_u32 v11, s2, v4, 2
	s_wait_alu 0xf1ff
	v_add_co_ci_u32_e64 v12, s2, 0, v9, s2
	v_sub_co_u32 v13, s2, v7, s20
	v_sub_co_ci_u32_e32 v8, vcc_lo, v6, v8, vcc_lo
	s_wait_alu 0xf1ff
	v_subrev_co_ci_u32_e64 v10, s2, 0, v10, s2
	s_delay_alu instid0(VALU_DEP_3) | instskip(NEXT) | instid1(VALU_DEP_3)
	v_cmp_le_u32_e32 vcc_lo, s20, v13
	v_cmp_eq_u32_e64 s2, s21, v8
	s_wait_alu 0xfffd
	v_cndmask_b32_e64 v13, 0, -1, vcc_lo
	v_cmp_le_u32_e32 vcc_lo, s21, v10
	s_wait_alu 0xfffd
	v_cndmask_b32_e64 v14, 0, -1, vcc_lo
	v_cmp_le_u32_e32 vcc_lo, s20, v7
	;; [unrolled: 3-line block ×3, first 2 shown]
	s_wait_alu 0xfffd
	v_cndmask_b32_e64 v15, 0, -1, vcc_lo
	v_cmp_eq_u32_e32 vcc_lo, s21, v10
	s_wait_alu 0xf1ff
	s_delay_alu instid0(VALU_DEP_2)
	v_cndmask_b32_e64 v7, v15, v7, s2
	s_wait_alu 0xfffd
	v_cndmask_b32_e32 v10, v14, v13, vcc_lo
	v_add_co_u32 v13, vcc_lo, v4, 1
	s_wait_alu 0xfffd
	v_add_co_ci_u32_e32 v14, vcc_lo, 0, v9, vcc_lo
	s_delay_alu instid0(VALU_DEP_3) | instskip(SKIP_2) | instid1(VALU_DEP_3)
	v_cmp_ne_u32_e32 vcc_lo, 0, v10
	s_wait_alu 0xfffd
	v_cndmask_b32_e32 v10, v13, v11, vcc_lo
	v_cndmask_b32_e32 v8, v14, v12, vcc_lo
	v_cmp_ne_u32_e32 vcc_lo, 0, v7
	s_wait_alu 0xfffd
	s_delay_alu instid0(VALU_DEP_2)
	v_dual_cndmask_b32 v7, v4, v10 :: v_dual_cndmask_b32 v8, v9, v8
.LBB0_4:                                ;   in Loop: Header=BB0_2 Depth=1
	s_wait_alu 0xfffe
	s_and_not1_saveexec_b32 s2, s22
	s_cbranch_execz .LBB0_6
; %bb.5:                                ;   in Loop: Header=BB0_2 Depth=1
	v_cvt_f32_u32_e32 v4, s20
	s_sub_co_i32 s22, 0, s20
	s_delay_alu instid0(VALU_DEP_1) | instskip(NEXT) | instid1(TRANS32_DEP_1)
	v_rcp_iflag_f32_e32 v4, v4
	v_mul_f32_e32 v4, 0x4f7ffffe, v4
	s_delay_alu instid0(VALU_DEP_1) | instskip(SKIP_1) | instid1(VALU_DEP_1)
	v_cvt_u32_f32_e32 v4, v4
	s_wait_alu 0xfffe
	v_mul_lo_u32 v7, s22, v4
	s_delay_alu instid0(VALU_DEP_1) | instskip(NEXT) | instid1(VALU_DEP_1)
	v_mul_hi_u32 v7, v4, v7
	v_add_nc_u32_e32 v4, v4, v7
	s_delay_alu instid0(VALU_DEP_1) | instskip(NEXT) | instid1(VALU_DEP_1)
	v_mul_hi_u32 v4, v5, v4
	v_mul_lo_u32 v7, v4, s20
	v_add_nc_u32_e32 v8, 1, v4
	s_delay_alu instid0(VALU_DEP_2) | instskip(NEXT) | instid1(VALU_DEP_1)
	v_sub_nc_u32_e32 v7, v5, v7
	v_subrev_nc_u32_e32 v9, s20, v7
	v_cmp_le_u32_e32 vcc_lo, s20, v7
	s_wait_alu 0xfffd
	s_delay_alu instid0(VALU_DEP_2) | instskip(NEXT) | instid1(VALU_DEP_1)
	v_dual_cndmask_b32 v7, v7, v9 :: v_dual_cndmask_b32 v4, v4, v8
	v_cmp_le_u32_e32 vcc_lo, s20, v7
	s_delay_alu instid0(VALU_DEP_2) | instskip(SKIP_1) | instid1(VALU_DEP_1)
	v_add_nc_u32_e32 v8, 1, v4
	s_wait_alu 0xfffd
	v_dual_cndmask_b32 v7, v4, v8 :: v_dual_mov_b32 v8, v3
.LBB0_6:                                ;   in Loop: Header=BB0_2 Depth=1
	s_wait_alu 0xfffe
	s_or_b32 exec_lo, exec_lo, s2
	s_load_b64 s[22:23], s[14:15], 0x0
	s_delay_alu instid0(VALU_DEP_1)
	v_mul_lo_u32 v4, v8, s20
	v_mul_lo_u32 v11, v7, s21
	v_mad_co_u64_u32 v[9:10], null, v7, s20, 0
	s_add_nc_u64 s[16:17], s[16:17], 1
	s_add_nc_u64 s[14:15], s[14:15], 8
	s_wait_alu 0xfffe
	v_cmp_ge_u64_e64 s2, s[16:17], s[6:7]
	s_add_nc_u64 s[18:19], s[18:19], 8
	s_delay_alu instid0(VALU_DEP_2) | instskip(NEXT) | instid1(VALU_DEP_3)
	v_add3_u32 v4, v10, v11, v4
	v_sub_co_u32 v5, vcc_lo, v5, v9
	s_wait_alu 0xfffd
	s_delay_alu instid0(VALU_DEP_2) | instskip(SKIP_3) | instid1(VALU_DEP_2)
	v_sub_co_ci_u32_e32 v4, vcc_lo, v6, v4, vcc_lo
	s_and_b32 vcc_lo, exec_lo, s2
	s_wait_kmcnt 0x0
	v_mul_lo_u32 v6, s23, v5
	v_mul_lo_u32 v4, s22, v4
	v_mad_co_u64_u32 v[1:2], null, s22, v5, v[1:2]
	s_delay_alu instid0(VALU_DEP_1)
	v_add3_u32 v2, v6, v2, v4
	s_wait_alu 0xfffe
	s_cbranch_vccnz .LBB0_9
; %bb.7:                                ;   in Loop: Header=BB0_2 Depth=1
	v_dual_mov_b32 v5, v7 :: v_dual_mov_b32 v6, v8
	s_branch .LBB0_2
.LBB0_8:
	v_dual_mov_b32 v8, v6 :: v_dual_mov_b32 v7, v5
.LBB0_9:
	s_lshl_b64 s[2:3], s[6:7], 3
	v_mul_hi_u32 v3, 0x4a7904b, v0
	s_wait_alu 0xfffe
	s_add_nc_u64 s[2:3], s[12:13], s[2:3]
                                        ; implicit-def: $vgpr37
                                        ; implicit-def: $vgpr65
                                        ; implicit-def: $vgpr59
                                        ; implicit-def: $vgpr18
                                        ; implicit-def: $vgpr41
                                        ; implicit-def: $vgpr45
                                        ; implicit-def: $vgpr63
                                        ; implicit-def: $vgpr67
                                        ; implicit-def: $vgpr31
                                        ; implicit-def: $vgpr26
                                        ; implicit-def: $vgpr24
                                        ; implicit-def: $vgpr61
                                        ; implicit-def: $vgpr53
                                        ; implicit-def: $vgpr51
                                        ; implicit-def: $vgpr43
                                        ; implicit-def: $vgpr47
                                        ; implicit-def: $vgpr49
                                        ; implicit-def: $vgpr55
                                        ; implicit-def: $vgpr69
                                        ; implicit-def: $vgpr35
	s_load_b64 s[2:3], s[2:3], 0x0
	s_load_b64 s[0:1], s[0:1], 0x20
	s_delay_alu instid0(VALU_DEP_1) | instskip(NEXT) | instid1(VALU_DEP_1)
	v_mul_u32_u24_e32 v3, 55, v3
	v_sub_nc_u32_e32 v70, v0, v3
                                        ; implicit-def: $vgpr3
	s_wait_kmcnt 0x0
	v_mul_lo_u32 v4, s2, v8
	v_mul_lo_u32 v5, s3, v7
	v_mad_co_u64_u32 v[1:2], null, s2, v7, v[1:2]
	v_cmp_gt_u64_e32 vcc_lo, s[0:1], v[7:8]
	v_dual_mov_b32 v8, 0 :: v_dual_mov_b32 v7, 0
	s_delay_alu instid0(VALU_DEP_3) | instskip(NEXT) | instid1(VALU_DEP_1)
	v_add3_u32 v2, v5, v2, v4
	v_lshlrev_b64_e32 v[28:29], 3, v[1:2]
	s_and_saveexec_b32 s1, vcc_lo
	s_cbranch_execz .LBB0_13
; %bb.10:
	v_add_nc_u32_e32 v10, 0x69, v70
	v_mad_co_u64_u32 v[2:3], null, s8, v70, 0
	s_mov_b32 s2, exec_lo
                                        ; implicit-def: $vgpr54
                                        ; implicit-def: $vgpr48
                                        ; implicit-def: $vgpr46
                                        ; implicit-def: $vgpr42
                                        ; implicit-def: $vgpr50
                                        ; implicit-def: $vgpr52
                                        ; implicit-def: $vgpr60
                                        ; implicit-def: $vgpr23
                                        ; implicit-def: $vgpr25
                                        ; implicit-def: $vgpr30
	v_add_nc_u32_e32 v13, 0x13b, v70
	s_delay_alu instid0(VALU_DEP_3) | instskip(NEXT) | instid1(VALU_DEP_3)
	v_mad_co_u64_u32 v[4:5], null, s8, v10, 0
	v_dual_mov_b32 v0, v3 :: v_dual_add_nc_u32 v21, 0x3b1, v70
	s_delay_alu instid0(VALU_DEP_2) | instskip(NEXT) | instid1(VALU_DEP_1)
	v_mov_b32_e32 v1, v5
	v_mad_co_u64_u32 v[8:9], null, s9, v70, v[0:1]
	v_add_nc_u32_e32 v12, 0xd2, v70
	v_mad_co_u64_u32 v[9:10], null, s9, v10, v[1:2]
	v_mad_co_u64_u32 v[10:11], null, s8, v13, 0
	v_add_co_u32 v0, s0, s10, v28
	v_mov_b32_e32 v3, v8
	v_mad_co_u64_u32 v[6:7], null, s8, v12, 0
	v_mov_b32_e32 v5, v9
	s_wait_alu 0xf1ff
	v_add_co_ci_u32_e64 v1, s0, s11, v29, s0
	v_lshlrev_b64_e32 v[2:3], 3, v[2:3]
	s_delay_alu instid0(VALU_DEP_4) | instskip(SKIP_2) | instid1(VALU_DEP_4)
	v_mad_co_u64_u32 v[7:8], null, s9, v12, v[7:8]
	v_mov_b32_e32 v8, v11
	v_lshlrev_b64_e32 v[4:5], 3, v[4:5]
	v_add_co_u32 v2, s0, v0, v2
	s_wait_alu 0xf1ff
	v_add_co_ci_u32_e64 v3, s0, v1, v3, s0
	v_mad_co_u64_u32 v[8:9], null, s9, v13, v[8:9]
	v_add_nc_u32_e32 v16, 0x1a4, v70
	v_lshlrev_b64_e32 v[6:7], 3, v[6:7]
	v_add_co_u32 v4, s0, v0, v4
	s_wait_alu 0xf1ff
	v_add_co_ci_u32_e64 v5, s0, v1, v5, s0
	v_mov_b32_e32 v11, v8
	v_mad_co_u64_u32 v[12:13], null, s8, v16, 0
	v_add_co_u32 v6, s0, v0, v6
	s_delay_alu instid0(VALU_DEP_3) | instskip(SKIP_4) | instid1(VALU_DEP_3)
	v_lshlrev_b64_e32 v[9:10], 3, v[10:11]
	v_add_nc_u32_e32 v11, 0x276, v70
	s_wait_alu 0xf1ff
	v_add_co_ci_u32_e64 v7, s0, v1, v7, s0
	v_mov_b32_e32 v8, v13
	v_mad_co_u64_u32 v[19:20], null, s8, v11, 0
	s_delay_alu instid0(VALU_DEP_2) | instskip(SKIP_4) | instid1(VALU_DEP_4)
	v_mad_co_u64_u32 v[16:17], null, s9, v16, v[8:9]
	v_add_nc_u32_e32 v18, 0x20d, v70
	v_add_co_u32 v9, s0, v0, v9
	s_wait_alu 0xf1ff
	v_add_co_ci_u32_e64 v10, s0, v1, v10, s0
	v_mov_b32_e32 v13, v16
	v_mad_co_u64_u32 v[14:15], null, s8, v18, 0
	s_delay_alu instid0(VALU_DEP_1) | instskip(NEXT) | instid1(VALU_DEP_1)
	v_mov_b32_e32 v8, v15
	v_mad_co_u64_u32 v[15:16], null, s9, v18, v[8:9]
	s_clause 0x3
	global_load_b64 v[36:37], v[2:3], off
	global_load_b64 v[64:65], v[4:5], off
	;; [unrolled: 1-line block ×4, first 2 shown]
	v_lshlrev_b64_e32 v[2:3], 3, v[12:13]
	v_add_nc_u32_e32 v12, 0x2df, v70
	v_mov_b32_e32 v4, v20
	v_add_nc_u32_e32 v16, 0x348, v70
	s_delay_alu instid0(VALU_DEP_3) | instskip(SKIP_3) | instid1(VALU_DEP_3)
	v_mad_co_u64_u32 v[5:6], null, s8, v12, 0
	v_add_co_u32 v2, s0, v0, v2
	s_wait_alu 0xf1ff
	v_add_co_ci_u32_e64 v3, s0, v1, v3, s0
	v_mad_co_u64_u32 v[7:8], null, s9, v11, v[4:5]
	v_mad_co_u64_u32 v[8:9], null, s8, v16, 0
	v_mov_b32_e32 v4, v6
	v_lshlrev_b64_e32 v[10:11], 3, v[14:15]
	s_delay_alu instid0(VALU_DEP_4) | instskip(NEXT) | instid1(VALU_DEP_3)
	v_mov_b32_e32 v20, v7
	v_mad_co_u64_u32 v[6:7], null, s9, v12, v[4:5]
	v_mov_b32_e32 v4, v9
	v_mad_co_u64_u32 v[12:13], null, s8, v21, 0
	v_add_nc_u32_e32 v7, 0x41a, v70
	v_lshlrev_b64_e32 v[19:20], 3, v[19:20]
	s_delay_alu instid0(VALU_DEP_4) | instskip(SKIP_1) | instid1(VALU_DEP_4)
	v_mad_co_u64_u32 v[14:15], null, s9, v16, v[4:5]
	v_add_co_u32 v10, s0, v0, v10
	v_mad_co_u64_u32 v[15:16], null, s8, v7, 0
	v_mov_b32_e32 v4, v13
	s_wait_alu 0xf1ff
	v_add_co_ci_u32_e64 v11, s0, v1, v11, s0
	v_mov_b32_e32 v9, v14
	v_add_co_u32 v19, s0, v0, v19
	v_mad_co_u64_u32 v[13:14], null, s9, v21, v[4:5]
	v_lshlrev_b64_e32 v[5:6], 3, v[5:6]
	v_mov_b32_e32 v4, v16
	s_wait_alu 0xf1ff
	v_add_co_ci_u32_e64 v20, s0, v1, v20, s0
	s_delay_alu instid0(VALU_DEP_2)
	v_mad_co_u64_u32 v[21:22], null, s9, v7, v[4:5]
	v_lshlrev_b64_e32 v[7:8], 3, v[8:9]
	v_add_co_u32 v4, s0, v0, v5
	s_wait_alu 0xf1ff
	v_add_co_ci_u32_e64 v5, s0, v1, v6, s0
	v_lshlrev_b64_e32 v[12:13], 3, v[12:13]
	v_mov_b32_e32 v16, v21
	v_add_co_u32 v6, s0, v0, v7
	s_wait_alu 0xf1ff
	v_add_co_ci_u32_e64 v7, s0, v1, v8, s0
	s_delay_alu instid0(VALU_DEP_3) | instskip(SKIP_3) | instid1(VALU_DEP_3)
	v_lshlrev_b64_e32 v[8:9], 3, v[15:16]
	v_add_co_u32 v12, s0, v0, v12
	s_wait_alu 0xf1ff
	v_add_co_ci_u32_e64 v13, s0, v1, v13, s0
	v_add_co_u32 v8, s0, v0, v8
	s_wait_alu 0xf1ff
	v_add_co_ci_u32_e64 v9, s0, v1, v9, s0
	s_clause 0x6
	global_load_b64 v[40:41], v[2:3], off
	global_load_b64 v[2:3], v[10:11], off
	;; [unrolled: 1-line block ×7, first 2 shown]
	v_dual_mov_b32 v7, 0 :: v_dual_mov_b32 v8, 0
	v_cmpx_gt_u32_e32 50, v70
	s_cbranch_execz .LBB0_12
; %bb.11:
	v_add_nc_u32_e32 v15, 0x109, v70
	v_add_nc_u32_e32 v13, 0xa0, v70
	;; [unrolled: 1-line block ×5, first 2 shown]
	v_mad_co_u64_u32 v[8:9], null, s8, v15, 0
	v_add_nc_u32_e32 v10, 55, v70
	v_mad_co_u64_u32 v[6:7], null, s8, v13, 0
	v_mad_co_u64_u32 v[32:33], null, s8, v27, 0
	s_delay_alu instid0(VALU_DEP_3) | instskip(NEXT) | instid1(VALU_DEP_3)
	v_mad_co_u64_u32 v[4:5], null, s8, v10, 0
	v_mad_co_u64_u32 v[13:14], null, s9, v13, v[7:8]
	s_delay_alu instid0(VALU_DEP_2) | instskip(SKIP_2) | instid1(VALU_DEP_4)
	v_mad_co_u64_u32 v[10:11], null, s9, v10, v[5:6]
	v_mov_b32_e32 v5, v9
	v_mad_co_u64_u32 v[11:12], null, s8, v19, 0
	v_dual_mov_b32 v7, v13 :: v_dual_add_nc_u32 v20, 0x1db, v70
	s_delay_alu instid0(VALU_DEP_3) | instskip(SKIP_1) | instid1(VALU_DEP_3)
	v_mad_co_u64_u32 v[14:15], null, s9, v15, v[5:6]
	v_mov_b32_e32 v5, v10
	v_mad_co_u64_u32 v[15:16], null, s8, v20, 0
	v_mov_b32_e32 v9, v12
	v_lshlrev_b64_e32 v[6:7], 3, v[6:7]
	s_delay_alu instid0(VALU_DEP_4) | instskip(NEXT) | instid1(VALU_DEP_3)
	v_lshlrev_b64_e32 v[4:5], 3, v[4:5]
	v_mad_co_u64_u32 v[12:13], null, s9, v19, v[9:10]
	v_mov_b32_e32 v9, v14
	s_delay_alu instid0(VALU_DEP_3) | instskip(SKIP_1) | instid1(VALU_DEP_4)
	v_add_co_u32 v4, s0, v0, v4
	s_wait_alu 0xf1ff
	v_add_co_ci_u32_e64 v5, s0, v1, v5, s0
	v_add_co_u32 v13, s0, v0, v6
	s_wait_alu 0xf1ff
	v_add_co_ci_u32_e64 v14, s0, v1, v7, s0
	v_lshlrev_b64_e32 v[6:7], 3, v[8:9]
	v_mad_co_u64_u32 v[9:10], null, s8, v22, 0
	v_mov_b32_e32 v8, v16
	v_lshlrev_b64_e32 v[11:12], 3, v[11:12]
	s_delay_alu instid0(VALU_DEP_2)
	v_mad_co_u64_u32 v[19:20], null, s9, v20, v[8:9]
	v_add_co_u32 v20, s0, v0, v6
	v_mov_b32_e32 v6, v10
	s_wait_alu 0xf1ff
	v_add_co_ci_u32_e64 v21, s0, v1, v7, s0
	v_add_co_u32 v10, s0, v0, v11
	s_wait_alu 0xf1ff
	v_add_co_ci_u32_e64 v11, s0, v1, v12, s0
	v_mad_co_u64_u32 v[6:7], null, s9, v22, v[6:7]
	s_clause 0x3
	global_load_b64 v[7:8], v[4:5], off
	global_load_b64 v[30:31], v[13:14], off
	;; [unrolled: 1-line block ×4, first 2 shown]
	v_mov_b32_e32 v16, v19
	s_delay_alu instid0(VALU_DEP_1) | instskip(SKIP_3) | instid1(VALU_DEP_3)
	v_lshlrev_b64_e32 v[4:5], 3, v[15:16]
	v_add_nc_u32_e32 v16, 0x316, v70
	v_mov_b32_e32 v10, v6
	v_mov_b32_e32 v6, v33
	v_mad_co_u64_u32 v[11:12], null, s8, v16, 0
	v_add_nc_u32_e32 v21, 0x37f, v70
	s_delay_alu instid0(VALU_DEP_4) | instskip(SKIP_3) | instid1(VALU_DEP_3)
	v_lshlrev_b64_e32 v[9:10], 3, v[9:10]
	v_add_co_u32 v4, s0, v0, v4
	s_wait_alu 0xf1ff
	v_add_co_ci_u32_e64 v5, s0, v1, v5, s0
	v_add_co_u32 v9, s0, v0, v9
	s_wait_alu 0xf1ff
	v_add_co_ci_u32_e64 v10, s0, v1, v10, s0
	s_wait_loadcnt 0x3
	v_mad_co_u64_u32 v[13:14], null, s9, v27, v[6:7]
	v_mov_b32_e32 v6, v12
	v_mad_co_u64_u32 v[14:15], null, s8, v21, 0
	v_add_nc_u32_e32 v27, 0x3e8, v70
	s_delay_alu instid0(VALU_DEP_4) | instskip(NEXT) | instid1(VALU_DEP_4)
	v_mov_b32_e32 v33, v13
	v_mad_co_u64_u32 v[12:13], null, s9, v16, v[6:7]
	s_delay_alu instid0(VALU_DEP_4) | instskip(NEXT) | instid1(VALU_DEP_4)
	v_dual_mov_b32 v6, v15 :: v_dual_add_nc_u32 v13, 0x451, v70
	v_mad_co_u64_u32 v[19:20], null, s8, v27, 0
	s_delay_alu instid0(VALU_DEP_4) | instskip(NEXT) | instid1(VALU_DEP_3)
	v_lshlrev_b64_e32 v[32:33], 3, v[32:33]
	v_mad_co_u64_u32 v[15:16], null, s9, v21, v[6:7]
	s_delay_alu instid0(VALU_DEP_4)
	v_mad_co_u64_u32 v[21:22], null, s8, v13, 0
	v_lshlrev_b64_e32 v[11:12], 3, v[11:12]
	v_mov_b32_e32 v6, v20
	v_add_co_u32 v32, s0, v0, v32
	s_wait_alu 0xf1ff
	v_add_co_ci_u32_e64 v33, s0, v1, v33, s0
	s_delay_alu instid0(VALU_DEP_3) | instskip(SKIP_4) | instid1(VALU_DEP_3)
	v_mad_co_u64_u32 v[38:39], null, s9, v27, v[6:7]
	v_mov_b32_e32 v6, v22
	v_add_co_u32 v11, s0, v0, v11
	s_wait_alu 0xf1ff
	v_add_co_ci_u32_e64 v12, s0, v1, v12, s0
	v_mad_co_u64_u32 v[42:43], null, s9, v13, v[6:7]
	v_mov_b32_e32 v20, v38
	v_lshlrev_b64_e32 v[13:14], 3, v[14:15]
	s_delay_alu instid0(VALU_DEP_2) | instskip(NEXT) | instid1(VALU_DEP_4)
	v_lshlrev_b64_e32 v[15:16], 3, v[19:20]
	v_mov_b32_e32 v22, v42
	s_delay_alu instid0(VALU_DEP_3) | instskip(SKIP_1) | instid1(VALU_DEP_4)
	v_add_co_u32 v13, s0, v0, v13
	s_wait_alu 0xf1ff
	v_add_co_ci_u32_e64 v14, s0, v1, v14, s0
	s_delay_alu instid0(VALU_DEP_3) | instskip(SKIP_3) | instid1(VALU_DEP_3)
	v_lshlrev_b64_e32 v[19:20], 3, v[21:22]
	v_add_co_u32 v15, s0, v0, v15
	s_wait_alu 0xf1ff
	v_add_co_ci_u32_e64 v16, s0, v1, v16, s0
	v_add_co_u32 v0, s0, v0, v19
	s_wait_alu 0xf1ff
	v_add_co_ci_u32_e64 v1, s0, v1, v20, s0
	s_clause 0x6
	global_load_b64 v[60:61], v[4:5], off
	global_load_b64 v[52:53], v[9:10], off
	;; [unrolled: 1-line block ×7, first 2 shown]
.LBB0_12:
	s_wait_alu 0xfffe
	s_or_b32 exec_lo, exec_lo, s2
.LBB0_13:
	s_wait_alu 0xfffe
	s_or_b32 exec_lo, exec_lo, s1
	s_wait_loadcnt 0x0
	v_dual_add_f32 v0, v36, v64 :: v_dual_sub_f32 v1, v65, v69
	v_dual_add_f32 v4, v68, v64 :: v_dual_add_f32 v5, v58, v66
	v_sub_f32_e32 v6, v59, v67
	s_delay_alu instid0(VALU_DEP_3) | instskip(SKIP_1) | instid1(VALU_DEP_3)
	v_dual_add_f32 v0, v0, v58 :: v_dual_mul_f32 v11, 0xbf7d64f0, v1
	v_mul_f32_e32 v9, 0xbf0a6770, v1
	v_dual_mul_f32 v10, 0xbf68dda4, v1 :: v_dual_mul_f32 v13, 0xbf68dda4, v6
	s_delay_alu instid0(VALU_DEP_3) | instskip(NEXT) | instid1(VALU_DEP_4)
	v_dual_add_f32 v0, v0, v17 :: v_dual_mul_f32 v15, 0x3e903f40, v6
	v_fmamk_f32 v20, v4, 0xbe11bafb, v11
	s_delay_alu instid0(VALU_DEP_3) | instskip(SKIP_1) | instid1(VALU_DEP_4)
	v_fmamk_f32 v19, v4, 0x3ed4b147, v10
	v_fma_f32 v10, 0x3ed4b147, v4, -v10
	v_add_f32_e32 v0, v0, v40
	v_fma_f32 v11, 0xbe11bafb, v4, -v11
	v_fmamk_f32 v16, v4, 0x3f575c64, v9
	v_fma_f32 v9, 0x3f575c64, v4, -v9
	v_mul_f32_e32 v12, 0xbf4178ce, v1
	v_dual_mul_f32 v1, 0xbe903f40, v1 :: v_dual_add_f32 v10, v10, v36
	v_add_f32_e32 v11, v11, v36
	s_delay_alu instid0(VALU_DEP_4) | instskip(NEXT) | instid1(VALU_DEP_4)
	v_add_f32_e32 v9, v9, v36
	v_fmamk_f32 v21, v4, 0xbf27a4f4, v12
	v_fma_f32 v12, 0xbf27a4f4, v4, -v12
	v_fmamk_f32 v22, v4, 0xbf75a155, v1
	v_fma_f32 v1, 0xbf75a155, v4, -v1
	v_fmamk_f32 v4, v5, 0x3ed4b147, v13
	v_dual_mul_f32 v14, 0xbf4178ce, v6 :: v_dual_add_f32 v19, v19, v36
	s_delay_alu instid0(VALU_DEP_3) | instskip(SKIP_1) | instid1(VALU_DEP_3)
	v_dual_add_f32 v0, v0, v2 :: v_dual_add_f32 v1, v1, v36
	v_fma_f32 v13, 0x3ed4b147, v5, -v13
	v_fmamk_f32 v27, v5, 0xbf27a4f4, v14
	s_delay_alu instid0(VALU_DEP_3) | instskip(SKIP_3) | instid1(VALU_DEP_4)
	v_dual_add_f32 v21, v21, v36 :: v_dual_add_f32 v0, v0, v34
	v_add_f32_e32 v32, v30, v42
	v_add_f32_e32 v38, v23, v48
	v_cmp_gt_u32_e64 s1, 50, v70
	v_dual_add_f32 v33, v25, v46 :: v_dual_add_f32 v0, v0, v44
	v_add_f32_e32 v39, v60, v50
	s_delay_alu instid0(VALU_DEP_2) | instskip(NEXT) | instid1(VALU_DEP_1)
	v_add_f32_e32 v0, v0, v62
	v_add_f32_e32 v0, v0, v66
	s_delay_alu instid0(VALU_DEP_1)
	v_add_f32_e32 v56, v68, v0
	v_add_f32_e32 v0, v13, v9
	v_fma_f32 v9, 0xbf27a4f4, v5, -v14
	v_mul_f32_e32 v13, 0x3f7d64f0, v6
	v_fmamk_f32 v14, v5, 0xbf75a155, v15
	v_fma_f32 v15, 0xbf75a155, v5, -v15
	s_delay_alu instid0(VALU_DEP_4) | instskip(NEXT) | instid1(VALU_DEP_4)
	v_dual_add_f32 v16, v16, v36 :: v_dual_add_f32 v9, v9, v10
	v_fmamk_f32 v10, v5, 0xbe11bafb, v13
	v_mul_f32_e32 v6, 0x3f0a6770, v6
	s_delay_alu instid0(VALU_DEP_4)
	v_dual_add_f32 v20, v20, v36 :: v_dual_add_f32 v11, v15, v11
	v_dual_sub_f32 v15, v18, v63 :: v_dual_add_f32 v12, v12, v36
	v_add_f32_e32 v4, v4, v16
	v_add_f32_e32 v16, v27, v19
	v_fma_f32 v13, 0xbe11bafb, v5, -v13
	v_dual_fmamk_f32 v19, v5, 0x3f575c64, v6 :: v_dual_add_f32 v14, v14, v20
	v_add_f32_e32 v10, v10, v21
	v_dual_add_f32 v20, v17, v62 :: v_dual_mul_f32 v21, 0xbf7d64f0, v15
	v_add_f32_e32 v22, v22, v36
	v_fma_f32 v5, 0x3f575c64, v5, -v6
	v_dual_add_f32 v6, v13, v12 :: v_dual_mul_f32 v13, 0x3e903f40, v15
	s_delay_alu instid0(VALU_DEP_3) | instskip(NEXT) | instid1(VALU_DEP_3)
	v_dual_add_f32 v12, v19, v22 :: v_dual_fmamk_f32 v19, v20, 0xbe11bafb, v21
	v_add_f32_e32 v1, v5, v1
	v_fma_f32 v5, 0xbe11bafb, v20, -v21
	v_mul_f32_e32 v21, 0x3f68dda4, v15
	v_fmamk_f32 v22, v20, 0xbf75a155, v13
	v_fma_f32 v13, 0xbf75a155, v20, -v13
	s_delay_alu instid0(VALU_DEP_3) | instskip(NEXT) | instid1(VALU_DEP_2)
	v_dual_add_f32 v0, v5, v0 :: v_dual_fmamk_f32 v5, v20, 0x3ed4b147, v21
	v_add_f32_e32 v9, v13, v9
	s_delay_alu instid0(VALU_DEP_4) | instskip(NEXT) | instid1(VALU_DEP_3)
	v_dual_mul_f32 v13, 0xbf0a6770, v15 :: v_dual_add_f32 v16, v22, v16
	v_dual_add_f32 v5, v5, v14 :: v_dual_mul_f32 v14, 0xbf4178ce, v15
	v_dual_sub_f32 v15, v41, v45 :: v_dual_add_f32 v22, v40, v44
	s_delay_alu instid0(VALU_DEP_1) | instskip(SKIP_1) | instid1(VALU_DEP_4)
	v_dual_mul_f32 v27, 0xbf4178ce, v15 :: v_dual_add_f32 v4, v19, v4
	v_fma_f32 v19, 0x3ed4b147, v20, -v21
	v_fmamk_f32 v21, v20, 0xbf27a4f4, v14
	v_fma_f32 v14, 0xbf27a4f4, v20, -v14
	s_delay_alu instid0(VALU_DEP_3) | instskip(SKIP_2) | instid1(VALU_DEP_4)
	v_add_f32_e32 v11, v19, v11
	v_fmamk_f32 v19, v20, 0x3f575c64, v13
	v_fma_f32 v13, 0x3f575c64, v20, -v13
	v_add_f32_e32 v1, v14, v1
	v_fma_f32 v14, 0xbf27a4f4, v22, -v27
	v_mul_f32_e32 v20, 0xbf0a6770, v15
	v_dual_add_f32 v10, v19, v10 :: v_dual_mul_f32 v19, 0x3f7d64f0, v15
	v_add_f32_e32 v12, v21, v12
	s_delay_alu instid0(VALU_DEP_4) | instskip(NEXT) | instid1(VALU_DEP_4)
	v_add_f32_e32 v0, v14, v0
	v_fmamk_f32 v14, v22, 0x3f575c64, v20
	s_delay_alu instid0(VALU_DEP_1) | instskip(SKIP_2) | instid1(VALU_DEP_2)
	v_add_f32_e32 v5, v14, v5
	v_fma_f32 v20, 0x3f575c64, v22, -v20
	v_dual_add_f32 v6, v13, v6 :: v_dual_fmamk_f32 v13, v22, 0xbf27a4f4, v27
	v_dual_add_f32 v36, v34, v2 :: v_dual_add_f32 v11, v20, v11
	s_delay_alu instid0(VALU_DEP_2) | instskip(SKIP_1) | instid1(VALU_DEP_1)
	v_dual_add_f32 v4, v13, v4 :: v_dual_fmamk_f32 v13, v22, 0xbe11bafb, v19
	v_fma_f32 v19, 0xbe11bafb, v22, -v19
	v_add_f32_e32 v9, v19, v9
	s_delay_alu instid0(VALU_DEP_3) | instskip(SKIP_1) | instid1(VALU_DEP_2)
	v_dual_add_f32 v13, v13, v16 :: v_dual_mul_f32 v16, 0xbe903f40, v15
	v_mul_f32_e32 v15, 0x3f68dda4, v15
	v_dual_sub_f32 v14, v3, v35 :: v_dual_fmamk_f32 v19, v22, 0xbf75a155, v16
	s_delay_alu instid0(VALU_DEP_2) | instskip(NEXT) | instid1(VALU_DEP_2)
	v_fmamk_f32 v21, v22, 0x3ed4b147, v15
	v_mul_f32_e32 v20, 0xbe903f40, v14
	v_fma_f32 v15, 0x3ed4b147, v22, -v15
	s_delay_alu instid0(VALU_DEP_3) | instskip(NEXT) | instid1(VALU_DEP_3)
	v_dual_add_f32 v10, v19, v10 :: v_dual_add_f32 v57, v21, v12
	v_fma_f32 v12, 0xbf75a155, v36, -v20
	v_mul_f32_e32 v19, 0x3f0a6770, v14
	s_delay_alu instid0(VALU_DEP_4) | instskip(NEXT) | instid1(VALU_DEP_3)
	v_dual_add_f32 v1, v15, v1 :: v_dual_mul_f32 v78, 0xbf7d64f0, v14
	v_add_f32_e32 v72, v12, v0
	s_delay_alu instid0(VALU_DEP_3) | instskip(NEXT) | instid1(VALU_DEP_1)
	v_fmamk_f32 v0, v36, 0x3f575c64, v19
	v_dual_mul_f32 v12, 0x3f68dda4, v14 :: v_dual_add_f32 v73, v0, v13
	v_fma_f32 v16, 0xbf75a155, v22, -v16
	s_delay_alu instid0(VALU_DEP_1) | instskip(SKIP_1) | instid1(VALU_DEP_1)
	v_add_f32_e32 v6, v16, v6
	v_fmamk_f32 v16, v36, 0xbf75a155, v20
	v_dual_add_f32 v71, v16, v4 :: v_dual_mul_f32 v4, 0xbf4178ce, v14
	v_sub_f32_e32 v14, v24, v49
	s_delay_alu instid0(VALU_DEP_2) | instskip(NEXT) | instid1(VALU_DEP_1)
	v_fmamk_f32 v16, v36, 0xbf27a4f4, v4
	v_add_f32_e32 v75, v16, v5
	v_fma_f32 v4, 0xbf27a4f4, v36, -v4
	v_fma_f32 v15, 0x3f575c64, v36, -v19
	v_fmamk_f32 v0, v36, 0x3ed4b147, v12
	s_delay_alu instid0(VALU_DEP_3) | instskip(NEXT) | instid1(VALU_DEP_3)
	v_add_f32_e32 v76, v4, v11
	v_dual_sub_f32 v11, v26, v47 :: v_dual_add_f32 v74, v15, v9
	s_delay_alu instid0(VALU_DEP_1) | instskip(NEXT) | instid1(VALU_DEP_4)
	v_mul_f32_e32 v9, 0xbf4178ce, v11
	v_add_f32_e32 v77, v0, v10
	v_fma_f32 v0, 0x3ed4b147, v36, -v12
	v_sub_f32_e32 v22, v31, v43
	s_delay_alu instid0(VALU_DEP_4) | instskip(NEXT) | instid1(VALU_DEP_2)
	v_fma_f32 v19, 0xbf27a4f4, v33, -v9
	v_mul_f32_e32 v5, 0xbf68dda4, v22
	s_delay_alu instid0(VALU_DEP_1) | instskip(NEXT) | instid1(VALU_DEP_1)
	v_fma_f32 v12, 0x3ed4b147, v32, -v5
	v_add_f32_e32 v15, v7, v12
	v_add_f32_e32 v79, v0, v6
	v_mul_f32_e32 v4, 0xbf0a6770, v22
	v_mul_f32_e32 v6, 0xbf68dda4, v11
	s_delay_alu instid0(VALU_DEP_4) | instskip(SKIP_1) | instid1(VALU_DEP_4)
	v_dual_mul_f32 v12, 0x3e903f40, v14 :: v_dual_add_f32 v21, v15, v19
	v_fmamk_f32 v0, v36, 0xbe11bafb, v78
	v_fma_f32 v10, 0x3f575c64, v32, -v4
	s_delay_alu instid0(VALU_DEP_4) | instskip(NEXT) | instid1(VALU_DEP_4)
	v_fma_f32 v16, 0x3ed4b147, v33, -v6
	v_fma_f32 v27, 0xbf75a155, v38, -v12
	s_delay_alu instid0(VALU_DEP_4) | instskip(NEXT) | instid1(VALU_DEP_4)
	v_add_f32_e32 v57, v0, v57
	v_add_f32_e32 v13, v7, v10
	s_delay_alu instid0(VALU_DEP_3) | instskip(SKIP_2) | instid1(VALU_DEP_4)
	v_dual_mul_f32 v10, 0xbf7d64f0, v14 :: v_dual_add_f32 v81, v21, v27
	v_add_f32_e32 v27, v52, v54
	v_fma_f32 v78, 0xbe11bafb, v36, -v78
	v_add_f32_e32 v20, v13, v16
	v_sub_f32_e32 v16, v61, v51
	v_fma_f32 v19, 0xbe11bafb, v38, -v10
	v_mad_u32_u24 v36, v70, 44, 0
	s_delay_alu instid0(VALU_DEP_3) | instskip(NEXT) | instid1(VALU_DEP_3)
	v_dual_add_f32 v78, v78, v1 :: v_dual_mul_f32 v13, 0xbf4178ce, v16
	v_dual_mul_f32 v15, 0x3f7d64f0, v16 :: v_dual_add_f32 v80, v20, v19
	v_sub_f32_e32 v19, v53, v55
	ds_store_2addr_b32 v36, v56, v71 offset1:1
	ds_store_2addr_b32 v36, v73, v75 offset0:2 offset1:3
	ds_store_2addr_b32 v36, v77, v57 offset0:4 offset1:5
	;; [unrolled: 1-line block ×4, first 2 shown]
	ds_store_b32 v36, v72 offset:40
	v_fma_f32 v82, 0xbf27a4f4, v39, -v13
	v_fma_f32 v83, 0xbe11bafb, v39, -v15
	v_mul_f32_e32 v20, 0xbe903f40, v19
	s_delay_alu instid0(VALU_DEP_3) | instskip(NEXT) | instid1(VALU_DEP_3)
	v_dual_mul_f32 v21, 0x3f0a6770, v19 :: v_dual_add_f32 v80, v82, v80
	v_add_f32_e32 v81, v83, v81
	s_delay_alu instid0(VALU_DEP_3) | instskip(NEXT) | instid1(VALU_DEP_3)
	v_fma_f32 v82, 0xbf75a155, v27, -v20
	v_fma_f32 v83, 0x3f575c64, v27, -v21
	s_delay_alu instid0(VALU_DEP_1)
	v_dual_add_f32 v1, v80, v82 :: v_dual_add_f32 v0, v81, v83
	s_and_saveexec_b32 s0, s1
	s_cbranch_execz .LBB0_15
; %bb.14:
	v_dual_mul_f32 v56, 0xbf75a155, v32 :: v_dual_mul_f32 v77, 0xbf75a155, v38
	v_mul_f32_e32 v75, 0x3f575c64, v33
	v_dual_mul_f32 v80, 0xbf27a4f4, v38 :: v_dual_mul_f32 v85, 0xbf27a4f4, v32
	s_delay_alu instid0(VALU_DEP_3) | instskip(SKIP_4) | instid1(VALU_DEP_4)
	v_fmamk_f32 v74, v22, 0x3e903f40, v56
	v_fmac_f32_e32 v56, 0xbe903f40, v22
	v_mul_f32_e32 v83, 0x3ed4b147, v39
	v_mul_f32_e32 v86, 0xbe11bafb, v27
	v_dual_mul_f32 v71, 0x3ed4b147, v32 :: v_dual_mul_f32 v72, 0x3ed4b147, v33
	v_add_f32_e32 v56, v7, v56
	v_fmamk_f32 v79, v11, 0xbf0a6770, v75
	v_fmac_f32_e32 v75, 0x3f0a6770, v11
	v_mul_f32_e32 v88, 0x3f575c64, v38
	v_dual_mul_f32 v73, 0xbf27a4f4, v33 :: v_dual_mul_f32 v78, 0xbf27a4f4, v39
	v_dual_mul_f32 v76, 0xbe11bafb, v38 :: v_dual_mul_f32 v81, 0xbe11bafb, v39
	s_delay_alu instid0(VALU_DEP_4) | instskip(SKIP_2) | instid1(VALU_DEP_3)
	v_dual_add_f32 v56, v56, v75 :: v_dual_fmamk_f32 v75, v22, 0x3f4178ce, v85
	v_fmac_f32_e32 v85, 0xbf4178ce, v22
	v_dual_mul_f32 v38, 0x3ed4b147, v38 :: v_dual_add_f32 v5, v5, v71
	v_dual_add_f32 v6, v6, v72 :: v_dual_add_f32 v75, v7, v75
	v_dual_mul_f32 v57, 0x3f575c64, v32 :: v_dual_add_f32 v74, v7, v74
	s_delay_alu instid0(VALU_DEP_4) | instskip(NEXT) | instid1(VALU_DEP_4)
	v_dual_add_f32 v85, v7, v85 :: v_dual_mul_f32 v32, 0xbe11bafb, v32
	v_add_f32_e32 v5, v7, v5
	s_delay_alu instid0(VALU_DEP_3) | instskip(NEXT) | instid1(VALU_DEP_4)
	v_add_f32_e32 v4, v4, v57
	v_add_f32_e32 v74, v74, v79
	v_fmamk_f32 v79, v14, 0x3f4178ce, v80
	v_dual_fmac_f32 v80, 0xbf4178ce, v14 :: v_dual_add_f32 v9, v9, v73
	s_delay_alu instid0(VALU_DEP_4) | instskip(NEXT) | instid1(VALU_DEP_2)
	v_add_f32_e32 v4, v7, v4
	v_add_f32_e32 v56, v56, v80
	s_delay_alu instid0(VALU_DEP_4) | instskip(NEXT) | instid1(VALU_DEP_3)
	v_dual_add_f32 v74, v74, v79 :: v_dual_fmamk_f32 v79, v16, 0xbf68dda4, v83
	v_dual_add_f32 v4, v4, v6 :: v_dual_add_f32 v5, v5, v9
	v_add_f32_e32 v6, v10, v76
	s_delay_alu instid0(VALU_DEP_3) | instskip(SKIP_1) | instid1(VALU_DEP_3)
	v_dual_add_f32 v74, v79, v74 :: v_dual_mul_f32 v79, 0xbe11bafb, v33
	v_fmac_f32_e32 v83, 0x3f68dda4, v16
	v_dual_mul_f32 v33, 0xbf75a155, v33 :: v_dual_add_f32 v4, v4, v6
	v_add_f32_e32 v6, v13, v78
	s_delay_alu instid0(VALU_DEP_4) | instskip(SKIP_3) | instid1(VALU_DEP_4)
	v_fmamk_f32 v80, v11, 0xbf7d64f0, v79
	v_fmac_f32_e32 v79, 0x3f7d64f0, v11
	v_mul_f32_e32 v82, 0xbf75a155, v27
	v_dual_add_f32 v56, v83, v56 :: v_dual_mul_f32 v83, 0xbf75a155, v39
	v_add_f32_e32 v75, v75, v80
	s_delay_alu instid0(VALU_DEP_4)
	v_dual_add_f32 v79, v85, v79 :: v_dual_fmamk_f32 v80, v14, 0x3f0a6770, v88
	v_mul_f32_e32 v84, 0x3f575c64, v27
	v_fmamk_f32 v87, v19, 0x3f7d64f0, v86
	v_add_nc_u32_e32 v13, 0x994, v36
	v_add_f32_e32 v4, v6, v4
	v_dual_add_f32 v75, v75, v80 :: v_dual_fmamk_f32 v80, v16, 0x3e903f40, v83
	v_add_f32_e32 v6, v20, v82
	s_delay_alu instid0(VALU_DEP_2) | instskip(SKIP_3) | instid1(VALU_DEP_4)
	v_dual_add_f32 v75, v80, v75 :: v_dual_fmac_f32 v88, 0xbf0a6770, v14
	v_fmamk_f32 v80, v22, 0x3f7d64f0, v32
	v_fmac_f32_e32 v32, 0xbf7d64f0, v22
	v_add_f32_e32 v22, v7, v30
	v_dual_fmac_f32 v86, 0xbf7d64f0, v19 :: v_dual_add_f32 v79, v79, v88
	s_delay_alu instid0(VALU_DEP_4) | instskip(SKIP_2) | instid1(VALU_DEP_4)
	v_add_f32_e32 v80, v7, v80
	v_fmamk_f32 v88, v11, 0xbe903f40, v33
	v_fmac_f32_e32 v33, 0x3e903f40, v11
	v_dual_add_f32 v11, v22, v25 :: v_dual_add_f32 v56, v56, v86
	v_add_f32_e32 v74, v74, v87
	s_delay_alu instid0(VALU_DEP_4) | instskip(SKIP_1) | instid1(VALU_DEP_4)
	v_dual_mul_f32 v87, 0x3ed4b147, v27 :: v_dual_add_f32 v80, v80, v88
	v_fmac_f32_e32 v83, 0xbe903f40, v16
	v_dual_add_f32 v11, v11, v23 :: v_dual_add_f32 v4, v4, v6
	s_delay_alu instid0(VALU_DEP_2) | instskip(NEXT) | instid1(VALU_DEP_2)
	v_add_f32_e32 v79, v83, v79
	v_add_f32_e32 v11, v11, v60
	v_dual_fmamk_f32 v83, v14, 0xbf68dda4, v38 :: v_dual_add_f32 v32, v7, v32
	v_fmamk_f32 v85, v19, 0xbf68dda4, v87
	v_mul_f32_e32 v39, 0x3f575c64, v39
	v_dual_fmac_f32 v87, 0x3f68dda4, v19 :: v_dual_fmac_f32 v38, 0x3f68dda4, v14
	s_delay_alu instid0(VALU_DEP_4) | instskip(SKIP_1) | instid1(VALU_DEP_4)
	v_dual_add_f32 v32, v32, v33 :: v_dual_mul_f32 v27, 0xbf27a4f4, v27
	v_add_f32_e32 v80, v80, v83
	v_fmamk_f32 v83, v16, 0x3f0a6770, v39
	s_delay_alu instid0(VALU_DEP_3) | instskip(NEXT) | instid1(VALU_DEP_4)
	v_dual_add_f32 v7, v11, v52 :: v_dual_add_f32 v32, v32, v38
	v_fmamk_f32 v14, v19, 0x3f4178ce, v27
	v_fmac_f32_e32 v39, 0xbf0a6770, v16
	v_add_f32_e32 v9, v12, v77
	s_delay_alu instid0(VALU_DEP_4) | instskip(SKIP_2) | instid1(VALU_DEP_4)
	v_add_f32_e32 v7, v7, v54
	v_add_f32_e32 v22, v79, v87
	;; [unrolled: 1-line block ×3, first 2 shown]
	v_dual_add_f32 v10, v39, v32 :: v_dual_add_f32 v5, v5, v9
	v_add_f32_e32 v9, v15, v81
	v_add_f32_e32 v7, v50, v7
	v_fmac_f32_e32 v27, 0xbf4178ce, v19
	v_dual_add_f32 v11, v79, v14 :: v_dual_add_nc_u32 v12, 0x98c, v36
	s_delay_alu instid0(VALU_DEP_4) | instskip(NEXT) | instid1(VALU_DEP_4)
	v_add_f32_e32 v5, v9, v5
	v_dual_add_f32 v7, v48, v7 :: v_dual_add_nc_u32 v14, 0x974, v36
	s_delay_alu instid0(VALU_DEP_4) | instskip(NEXT) | instid1(VALU_DEP_2)
	v_dual_add_f32 v10, v10, v27 :: v_dual_add_f32 v75, v75, v85
	v_add_f32_e32 v7, v46, v7
	s_delay_alu instid0(VALU_DEP_1) | instskip(NEXT) | instid1(VALU_DEP_1)
	v_dual_add_f32 v9, v21, v84 :: v_dual_add_f32 v6, v42, v7
	v_add_f32_e32 v5, v5, v9
	v_add_nc_u32_e32 v7, 0x97c, v36
	v_add_nc_u32_e32 v9, 0x984, v36
	ds_store_2addr_b32 v7, v5, v10 offset1:1
	ds_store_2addr_b32 v9, v22, v56 offset1:1
	;; [unrolled: 1-line block ×5, first 2 shown]
	ds_store_b32 v36, v1 offset:2460
.LBB0_15:
	s_wait_alu 0xfffe
	s_or_b32 exec_lo, exec_lo, s0
	v_mad_i32_i24 v71, 0xffffffd8, v70, v36
	global_wb scope:SCOPE_SE
	s_wait_dscnt 0x0
	s_barrier_signal -1
	s_barrier_wait -1
	global_inv scope:SCOPE_SE
	v_add_nc_u32_e32 v6, 0x200, v71
	v_add_nc_u32_e32 v9, 0x800, v71
	v_add_nc_u32_e32 v7, 0x600, v71
	v_add_nc_u32_e32 v10, 0xc00, v71
	v_add_nc_u32_e32 v11, 0x400, v71
	v_add_nc_u32_e32 v27, 0x1000, v71
	ds_load_2addr_b32 v[4:5], v71 offset1:55
	ds_load_2addr_b32 v[38:39], v6 offset0:103 offset1:158
	ds_load_2addr_b32 v[32:33], v7 offset0:78 offset1:133
	;; [unrolled: 1-line block ×9, first 2 shown]
	v_cmp_gt_u32_e64 s0, 11, v70
                                        ; implicit-def: $vgpr27
                                        ; implicit-def: $vgpr57
	s_delay_alu instid0(VALU_DEP_1)
	s_and_saveexec_b32 s2, s0
	s_cbranch_execz .LBB0_17
; %bb.16:
	v_add_nc_u32_e32 v0, 0x340, v71
	v_add_nc_u32_e32 v27, 0xa80, v71
	ds_load_2addr_b32 v[0:1], v0 offset0:12 offset1:243
	ds_load_2addr_b32 v[56:57], v27 offset0:10 offset1:241
	ds_load_b32 v27, v71 offset:4576
.LBB0_17:
	s_wait_alu 0xfffe
	s_or_b32 exec_lo, exec_lo, s2
	v_sub_f32_e32 v64, v64, v68
	v_add_f32_e32 v72, v37, v65
	v_add_f32_e32 v65, v69, v65
	global_wb scope:SCOPE_SE
	s_wait_dscnt 0x0
	s_barrier_signal -1
	v_dual_mul_f32 v73, 0xbf7d64f0, v64 :: v_dual_sub_f32 v58, v58, v66
	v_add_f32_e32 v68, v59, v67
	v_dual_add_f32 v59, v72, v59 :: v_dual_mul_f32 v66, 0xbf0a6770, v64
	s_delay_alu instid0(VALU_DEP_3) | instskip(NEXT) | instid1(VALU_DEP_4)
	v_fma_f32 v80, 0xbe11bafb, v65, -v73
	v_mul_f32_e32 v75, 0xbf68dda4, v58
	s_barrier_wait -1
	s_delay_alu instid0(VALU_DEP_3)
	v_dual_add_f32 v59, v59, v18 :: v_dual_mul_f32 v72, 0xbf68dda4, v64
	v_fma_f32 v78, 0x3f575c64, v65, -v66
	v_mul_f32_e32 v77, 0x3e903f40, v58
	global_inv scope:SCOPE_SE
	v_dual_add_f32 v59, v59, v41 :: v_dual_mul_f32 v74, 0xbf4178ce, v64
	v_fma_f32 v79, 0x3ed4b147, v65, -v72
	v_fmac_f32_e32 v72, 0x3ed4b147, v65
	s_delay_alu instid0(VALU_DEP_3)
	v_dual_add_f32 v78, v78, v37 :: v_dual_add_f32 v59, v59, v3
	v_mul_f32_e32 v64, 0xbe903f40, v64
	v_fmac_f32_e32 v73, 0xbe11bafb, v65
	v_fma_f32 v81, 0xbf27a4f4, v65, -v74
	v_add_f32_e32 v18, v18, v63
	v_dual_add_f32 v59, v59, v35 :: v_dual_mul_f32 v76, 0xbf4178ce, v58
	v_fma_f32 v82, 0xbf75a155, v65, -v64
	v_dual_sub_f32 v40, v40, v44 :: v_dual_add_f32 v41, v41, v45
	s_delay_alu instid0(VALU_DEP_3) | instskip(SKIP_3) | instid1(VALU_DEP_4)
	v_add_f32_e32 v59, v59, v45
	v_fmac_f32_e32 v66, 0x3f575c64, v65
	v_fma_f32 v83, 0xbf27a4f4, v68, -v76
	v_dual_add_f32 v79, v79, v37 :: v_dual_fmac_f32 v76, 0xbf27a4f4, v68
	v_dual_add_f32 v59, v59, v63 :: v_dual_fmac_f32 v74, 0xbf27a4f4, v65
	s_delay_alu instid0(VALU_DEP_4) | instskip(SKIP_2) | instid1(VALU_DEP_4)
	v_add_f32_e32 v66, v66, v37
	v_add_f32_e32 v80, v80, v37
	;; [unrolled: 1-line block ×3, first 2 shown]
	v_dual_add_f32 v59, v59, v67 :: v_dual_fmac_f32 v64, 0xbf75a155, v65
	v_fma_f32 v65, 0x3ed4b147, v68, -v75
	v_dual_fmac_f32 v75, 0x3ed4b147, v68 :: v_dual_add_f32 v72, v72, v37
	v_add_f32_e32 v73, v73, v37
	v_add_f32_e32 v67, v74, v37
	v_dual_add_f32 v74, v82, v37 :: v_dual_add_f32 v69, v69, v59
	v_dual_add_f32 v37, v64, v37 :: v_dual_add_f32 v64, v65, v78
	v_mul_f32_e32 v65, 0x3f7d64f0, v58
	v_add_f32_e32 v59, v75, v66
	v_fma_f32 v66, 0xbf75a155, v68, -v77
	v_dual_add_f32 v75, v83, v79 :: v_dual_add_f32 v72, v76, v72
	s_delay_alu instid0(VALU_DEP_4) | instskip(SKIP_1) | instid1(VALU_DEP_4)
	v_fma_f32 v76, 0xbe11bafb, v68, -v65
	v_mul_f32_e32 v58, 0x3f0a6770, v58
	v_dual_add_f32 v66, v66, v80 :: v_dual_sub_f32 v17, v17, v62
	s_delay_alu instid0(VALU_DEP_3) | instskip(SKIP_1) | instid1(VALU_DEP_4)
	v_dual_fmac_f32 v77, 0xbf75a155, v68 :: v_dual_add_f32 v62, v76, v81
	v_fmac_f32_e32 v65, 0xbe11bafb, v68
	v_fma_f32 v76, 0x3f575c64, v68, -v58
	s_delay_alu instid0(VALU_DEP_4) | instskip(NEXT) | instid1(VALU_DEP_4)
	v_mul_f32_e32 v63, 0xbf7d64f0, v17
	v_dual_add_f32 v73, v77, v73 :: v_dual_fmac_f32 v58, 0x3f575c64, v68
	s_delay_alu instid0(VALU_DEP_4) | instskip(NEXT) | instid1(VALU_DEP_4)
	v_dual_add_f32 v65, v65, v67 :: v_dual_mul_f32 v68, 0x3e903f40, v17
	v_add_f32_e32 v67, v76, v74
	s_delay_alu instid0(VALU_DEP_4) | instskip(NEXT) | instid1(VALU_DEP_4)
	v_fma_f32 v74, 0xbe11bafb, v18, -v63
	v_add_f32_e32 v37, v58, v37
	v_mul_f32_e32 v58, 0x3f68dda4, v17
	v_fma_f32 v76, 0xbf75a155, v18, -v68
	v_fmac_f32_e32 v68, 0xbf75a155, v18
	v_dual_add_f32 v64, v74, v64 :: v_dual_fmac_f32 v63, 0xbe11bafb, v18
	v_dual_mul_f32 v45, 0xbf4178ce, v40 :: v_dual_sub_f32 v2, v2, v34
	s_delay_alu instid0(VALU_DEP_3) | instskip(SKIP_1) | instid1(VALU_DEP_4)
	v_add_f32_e32 v68, v68, v72
	v_add_f32_e32 v74, v76, v75
	;; [unrolled: 1-line block ×3, first 2 shown]
	v_fma_f32 v63, 0x3ed4b147, v18, -v58
	v_fmac_f32_e32 v58, 0x3ed4b147, v18
	v_mul_f32_e32 v72, 0xbf0a6770, v17
	v_mul_f32_e32 v17, 0xbf4178ce, v17
	;; [unrolled: 1-line block ×3, first 2 shown]
	s_delay_alu instid0(VALU_DEP_4) | instskip(NEXT) | instid1(VALU_DEP_4)
	v_dual_add_f32 v63, v63, v66 :: v_dual_add_f32 v58, v58, v73
	v_fma_f32 v44, 0x3f575c64, v18, -v72
	v_fmac_f32_e32 v72, 0x3f575c64, v18
	v_fma_f32 v66, 0xbf27a4f4, v18, -v17
	v_fmac_f32_e32 v17, 0xbf27a4f4, v18
	v_dual_mul_f32 v34, 0x3f68dda4, v40 :: v_dual_add_f32 v3, v35, v3
	s_delay_alu instid0(VALU_DEP_4) | instskip(NEXT) | instid1(VALU_DEP_3)
	v_add_f32_e32 v18, v72, v65
	v_dual_add_f32 v44, v44, v62 :: v_dual_add_f32 v17, v17, v37
	v_add_f32_e32 v62, v66, v67
	v_fma_f32 v65, 0xbf27a4f4, v41, -v45
	v_fmac_f32_e32 v45, 0xbf27a4f4, v41
	v_mul_f32_e32 v37, 0xbf0a6770, v40
	v_mul_f32_e32 v66, 0x3f7d64f0, v40
	s_delay_alu instid0(VALU_DEP_4) | instskip(NEXT) | instid1(VALU_DEP_4)
	v_add_f32_e32 v64, v65, v64
	v_add_f32_e32 v45, v45, v59
	s_delay_alu instid0(VALU_DEP_4) | instskip(SKIP_2) | instid1(VALU_DEP_3)
	v_fma_f32 v59, 0x3f575c64, v41, -v37
	v_fmac_f32_e32 v37, 0x3f575c64, v41
	v_fma_f32 v65, 0xbe11bafb, v41, -v66
	v_dual_fmac_f32 v66, 0xbe11bafb, v41 :: v_dual_add_f32 v59, v59, v63
	s_delay_alu instid0(VALU_DEP_3) | instskip(SKIP_2) | instid1(VALU_DEP_4)
	v_add_f32_e32 v37, v37, v58
	v_fma_f32 v58, 0x3ed4b147, v41, -v34
	v_mul_f32_e32 v67, 0xbe903f40, v40
	v_dual_add_f32 v65, v65, v74 :: v_dual_add_f32 v66, v66, v68
	v_fmac_f32_e32 v34, 0x3ed4b147, v41
	v_mul_f32_e32 v35, 0xbe903f40, v2
	v_add_f32_e32 v68, v58, v62
	v_fma_f32 v40, 0xbf75a155, v41, -v67
	v_fmac_f32_e32 v67, 0xbf75a155, v41
	v_dual_add_f32 v72, v34, v17 :: v_dual_mul_f32 v17, 0xbf4178ce, v2
	v_add_f32_e32 v58, v31, v43
	s_delay_alu instid0(VALU_DEP_3)
	v_dual_add_f32 v40, v40, v44 :: v_dual_add_f32 v67, v67, v18
	v_fma_f32 v18, 0xbf75a155, v3, -v35
	v_fmac_f32_e32 v35, 0xbf75a155, v3
	v_mul_f32_e32 v41, 0x3f0a6770, v2
	v_fma_f32 v34, 0xbf27a4f4, v3, -v17
	v_fmac_f32_e32 v17, 0xbf27a4f4, v3
	s_delay_alu instid0(VALU_DEP_4) | instskip(NEXT) | instid1(VALU_DEP_4)
	v_dual_add_f32 v73, v18, v64 :: v_dual_add_f32 v74, v35, v45
	v_fma_f32 v18, 0x3f575c64, v3, -v41
	v_dual_fmac_f32 v41, 0x3f575c64, v3 :: v_dual_sub_f32 v44, v25, v46
	v_dual_add_f32 v77, v34, v59 :: v_dual_mul_f32 v2, 0xbf7d64f0, v2
	s_delay_alu instid0(VALU_DEP_3) | instskip(NEXT) | instid1(VALU_DEP_3)
	v_add_f32_e32 v76, v18, v65
	v_dual_sub_f32 v65, v30, v42 :: v_dual_mul_f32 v64, 0xbf4178ce, v44
	v_add_f32_e32 v42, v26, v47
	v_fma_f32 v18, 0x3ed4b147, v3, -v75
	v_add_f32_e32 v66, v41, v66
	s_delay_alu instid0(VALU_DEP_4)
	v_mul_f32_e32 v62, 0xbf68dda4, v65
	v_fmac_f32_e32 v75, 0x3ed4b147, v3
	v_fmamk_f32 v30, v42, 0xbf27a4f4, v64
	v_add_f32_e32 v79, v18, v40
	v_fma_f32 v80, 0xbe11bafb, v3, -v2
	v_fmamk_f32 v18, v58, 0x3ed4b147, v62
	v_fmac_f32_e32 v2, 0xbe11bafb, v3
	s_delay_alu instid0(VALU_DEP_2) | instskip(SKIP_1) | instid1(VALU_DEP_2)
	v_add_f32_e32 v18, v8, v18
	v_dual_add_f32 v78, v17, v37 :: v_dual_sub_f32 v37, v23, v48
	v_dual_mul_f32 v59, 0xbf0a6770, v65 :: v_dual_add_f32 v30, v18, v30
	v_add_f32_e32 v35, v24, v49
	s_delay_alu instid0(VALU_DEP_3) | instskip(NEXT) | instid1(VALU_DEP_3)
	v_dual_mul_f32 v46, 0x3e903f40, v37 :: v_dual_sub_f32 v25, v60, v50
	v_dual_fmamk_f32 v17, v58, 0x3f575c64, v59 :: v_dual_add_f32 v60, v75, v67
	s_delay_alu instid0(VALU_DEP_2) | instskip(NEXT) | instid1(VALU_DEP_3)
	v_dual_add_f32 v67, v80, v68 :: v_dual_fmamk_f32 v34, v35, 0xbf75a155, v46
	v_mul_f32_e32 v40, 0xbf4178ce, v25
	v_dual_mul_f32 v41, 0x3f7d64f0, v25 :: v_dual_add_f32 v68, v2, v72
	ds_store_2addr_b32 v36, v69, v73 offset1:1
	ds_store_2addr_b32 v36, v76, v77 offset0:2 offset1:3
	ds_store_2addr_b32 v36, v79, v67 offset0:4 offset1:5
	;; [unrolled: 1-line block ×4, first 2 shown]
	ds_store_b32 v36, v74 offset:40
	v_dual_add_f32 v50, v30, v34 :: v_dual_mul_f32 v45, 0xbf7d64f0, v37
	s_delay_alu instid0(VALU_DEP_1) | instskip(SKIP_1) | instid1(VALU_DEP_1)
	v_dual_add_f32 v17, v8, v17 :: v_dual_fmamk_f32 v18, v35, 0xbe11bafb, v45
	v_mul_f32_e32 v63, 0xbf68dda4, v44
	v_fmamk_f32 v23, v42, 0x3ed4b147, v63
	s_delay_alu instid0(VALU_DEP_1) | instskip(SKIP_1) | instid1(VALU_DEP_2)
	v_add_f32_e32 v17, v17, v23
	v_add_f32_e32 v23, v61, v51
	;; [unrolled: 1-line block ×3, first 2 shown]
	v_sub_f32_e32 v18, v52, v54
	s_delay_alu instid0(VALU_DEP_3) | instskip(SKIP_1) | instid1(VALU_DEP_3)
	v_dual_fmamk_f32 v52, v23, 0xbf27a4f4, v40 :: v_dual_add_f32 v17, v53, v55
	v_fmamk_f32 v54, v23, 0xbe11bafb, v41
	v_mul_f32_e32 v30, 0xbe903f40, v18
	s_delay_alu instid0(VALU_DEP_3) | instskip(NEXT) | instid1(VALU_DEP_3)
	v_dual_mul_f32 v34, 0x3f0a6770, v18 :: v_dual_add_f32 v3, v52, v48
	v_add_f32_e32 v48, v54, v50
	v_add_nc_u32_e32 v54, 55, v70
	s_delay_alu instid0(VALU_DEP_4) | instskip(NEXT) | instid1(VALU_DEP_1)
	v_fmamk_f32 v50, v17, 0xbf75a155, v30
	v_dual_fmamk_f32 v52, v17, 0x3f575c64, v34 :: v_dual_add_f32 v3, v3, v50
	s_delay_alu instid0(VALU_DEP_1)
	v_add_f32_e32 v2, v48, v52
	s_and_saveexec_b32 s2, s1
	s_cbranch_execz .LBB0_19
; %bb.18:
	v_dual_add_f32 v31, v8, v31 :: v_dual_mul_f32 v36, 0x3f575c64, v58
	s_delay_alu instid0(VALU_DEP_1) | instskip(SKIP_2) | instid1(VALU_DEP_4)
	v_dual_mul_f32 v69, 0xbf7d64f0, v65 :: v_dual_add_f32 v26, v31, v26
	v_mul_f32_e32 v31, 0xbe11bafb, v35
	v_mul_f32_e32 v67, 0xbe11bafb, v23
	v_sub_f32_e32 v36, v36, v59
	s_delay_alu instid0(VALU_DEP_3) | instskip(NEXT) | instid1(VALU_DEP_3)
	v_dual_add_f32 v24, v26, v24 :: v_dual_sub_f32 v31, v31, v45
	v_sub_f32_e32 v41, v67, v41
	s_delay_alu instid0(VALU_DEP_2) | instskip(NEXT) | instid1(VALU_DEP_1)
	v_dual_add_f32 v24, v24, v61 :: v_dual_mul_f32 v73, 0x3f7d64f0, v44
	v_add_f32_e32 v24, v24, v53
	v_fma_f32 v53, 0xbe11bafb, v58, -v69
	v_fmac_f32_e32 v69, 0xbe11bafb, v58
	v_mul_f32_e32 v50, 0x3ed4b147, v42
	s_delay_alu instid0(VALU_DEP_4) | instskip(SKIP_1) | instid1(VALU_DEP_2)
	v_add_f32_e32 v24, v24, v55
	v_mul_f32_e32 v52, 0xbf27a4f4, v42
	v_add_f32_e32 v24, v51, v24
	s_delay_alu instid0(VALU_DEP_1) | instskip(SKIP_1) | instid1(VALU_DEP_4)
	v_dual_add_f32 v24, v49, v24 :: v_dual_add_f32 v49, v8, v53
	v_dual_add_f32 v53, v8, v69 :: v_dual_mul_f32 v48, 0x3ed4b147, v58
	v_sub_f32_e32 v51, v52, v64
	s_delay_alu instid0(VALU_DEP_2) | instskip(SKIP_1) | instid1(VALU_DEP_2)
	v_dual_mul_f32 v61, 0xbe903f40, v65 :: v_dual_sub_f32 v48, v48, v62
	v_mul_f32_e32 v60, 0xbf75a155, v35
	v_fma_f32 v55, 0xbf75a155, v58, -v61
	v_fmac_f32_e32 v61, 0xbf75a155, v58
	v_mul_f32_e32 v72, 0xbf4178ce, v65
	v_mul_f32_e32 v65, 0x3e903f40, v44
	v_sub_f32_e32 v45, v60, v46
	v_add_f32_e32 v48, v8, v48
	v_sub_f32_e32 v50, v50, v63
	v_fma_f32 v59, 0xbf27a4f4, v58, -v72
	v_fma_f32 v52, 0xbf75a155, v42, -v65
	v_fmac_f32_e32 v65, 0xbf75a155, v42
	v_mul_f32_e32 v68, 0x3f575c64, v17
	v_add_f32_e32 v48, v48, v51
	s_delay_alu instid0(VALU_DEP_4) | instskip(SKIP_2) | instid1(VALU_DEP_3)
	v_dual_mul_f32 v26, 0xbf75a155, v17 :: v_dual_add_f32 v49, v49, v52
	v_dual_add_f32 v24, v47, v24 :: v_dual_add_f32 v47, v8, v55
	v_mul_f32_e32 v46, 0x3f68dda4, v37
	v_sub_f32_e32 v26, v26, v30
	v_sub_f32_e32 v30, v68, v34
	s_delay_alu instid0(VALU_DEP_4)
	v_add_f32_e32 v24, v43, v24
	v_mul_f32_e32 v43, 0x3f0a6770, v44
	v_add_f32_e32 v36, v8, v36
	v_fma_f32 v44, 0xbe11bafb, v42, -v73
	v_fmac_f32_e32 v73, 0xbe11bafb, v42
	v_mul_f32_e32 v34, 0x3f68dda4, v18
	v_fma_f32 v51, 0x3f575c64, v42, -v43
	v_fmac_f32_e32 v43, 0x3f575c64, v42
	v_add_f32_e32 v36, v36, v50
	v_fmac_f32_e32 v72, 0xbf27a4f4, v58
	v_add_f32_e32 v58, v8, v59
	v_add_f32_e32 v42, v47, v51
	s_delay_alu instid0(VALU_DEP_4) | instskip(NEXT) | instid1(VALU_DEP_4)
	v_add_f32_e32 v31, v36, v31
	v_dual_mul_f32 v66, 0xbf27a4f4, v23 :: v_dual_add_f32 v59, v8, v72
	v_mul_f32_e32 v36, 0xbf0a6770, v37
	v_mul_f32_e32 v37, 0xbf4178ce, v37
	v_add_f32_e32 v8, v8, v61
	v_add_f32_e32 v44, v58, v44
	s_delay_alu instid0(VALU_DEP_4) | instskip(SKIP_1) | instid1(VALU_DEP_4)
	v_fma_f32 v47, 0x3f575c64, v35, -v36
	v_fmac_f32_e32 v36, 0x3f575c64, v35
	v_add_f32_e32 v8, v8, v43
	v_add_f32_e32 v43, v48, v45
	v_add_f32_e32 v52, v59, v73
	v_fma_f32 v48, 0xbf27a4f4, v35, -v37
	v_fmac_f32_e32 v37, 0xbf27a4f4, v35
	v_fma_f32 v45, 0x3ed4b147, v35, -v46
	v_add_f32_e32 v44, v44, v47
	s_delay_alu instid0(VALU_DEP_3)
	v_dual_add_f32 v8, v8, v37 :: v_dual_add_f32 v37, v41, v43
	v_add_f32_e32 v36, v52, v36
	v_dual_fmac_f32 v46, 0x3ed4b147, v35 :: v_dual_sub_f32 v35, v66, v40
	v_add_f32_e32 v50, v53, v65
	v_add_f32_e32 v40, v42, v48
	v_mul_f32_e32 v42, 0xbf0a6770, v25
	v_add_f32_e32 v45, v49, v45
	v_add_f32_e32 v31, v35, v31
	v_mul_f32_e32 v35, 0xbe903f40, v25
	v_mul_f32_e32 v25, 0x3f68dda4, v25
	v_fma_f32 v41, 0x3f575c64, v23, -v42
	v_fmac_f32_e32 v42, 0x3f575c64, v23
	v_add_f32_e32 v26, v31, v26
	v_fma_f32 v43, 0xbf75a155, v23, -v35
	v_fmac_f32_e32 v35, 0xbf75a155, v23
	v_add_f32_e32 v41, v41, v45
	v_fma_f32 v45, 0x3ed4b147, v23, -v25
	v_fmac_f32_e32 v25, 0x3ed4b147, v23
	v_mul_f32_e32 v23, 0xbf4178ce, v18
	v_dual_add_f32 v35, v35, v36 :: v_dual_add_f32 v46, v50, v46
	v_mul_f32_e32 v18, 0xbf7d64f0, v18
	s_delay_alu instid0(VALU_DEP_4) | instskip(NEXT) | instid1(VALU_DEP_4)
	v_add_f32_e32 v8, v25, v8
	v_fma_f32 v25, 0xbf27a4f4, v17, -v23
	v_add_f32_e32 v30, v37, v30
	v_fma_f32 v31, 0x3ed4b147, v17, -v34
	v_dual_fmac_f32 v23, 0xbf27a4f4, v17 :: v_dual_add_f32 v36, v45, v40
	v_fmac_f32_e32 v34, 0x3ed4b147, v17
	v_fma_f32 v37, 0xbe11bafb, v17, -v18
	v_dual_add_f32 v43, v43, v44 :: v_dual_fmac_f32 v18, 0xbe11bafb, v17
	s_delay_alu instid0(VALU_DEP_3) | instskip(NEXT) | instid1(VALU_DEP_3)
	v_dual_add_f32 v25, v41, v25 :: v_dual_add_f32 v34, v35, v34
	v_dual_add_f32 v35, v36, v37 :: v_dual_add_f32 v42, v42, v46
	s_delay_alu instid0(VALU_DEP_3) | instskip(SKIP_2) | instid1(VALU_DEP_4)
	v_add_f32_e32 v17, v43, v31
	v_mad_u32_u24 v31, v54, 44, 0
	v_add_f32_e32 v8, v8, v18
	v_add_f32_e32 v18, v42, v23
	ds_store_2addr_b32 v31, v24, v26 offset1:1
	ds_store_2addr_b32 v31, v30, v25 offset0:2 offset1:3
	ds_store_2addr_b32 v31, v17, v35 offset0:4 offset1:5
	;; [unrolled: 1-line block ×4, first 2 shown]
	ds_store_b32 v31, v3 offset:40
.LBB0_19:
	s_wait_alu 0xfffe
	s_or_b32 exec_lo, exec_lo, s2
	v_add_nc_u32_e32 v8, 0x200, v71
	v_add_nc_u32_e32 v23, 0x600, v71
	;; [unrolled: 1-line block ×3, first 2 shown]
	global_wb scope:SCOPE_SE
	s_wait_dscnt 0x0
	s_barrier_signal -1
	s_barrier_wait -1
	global_inv scope:SCOPE_SE
	ds_load_2addr_b32 v[17:18], v71 offset1:55
	v_add_nc_u32_e32 v26, 0xc00, v71
	ds_load_2addr_b32 v[46:47], v8 offset0:103 offset1:158
	ds_load_2addr_b32 v[44:45], v23 offset0:78 offset1:133
	v_add_nc_u32_e32 v8, 0x400, v71
	v_add_nc_u32_e32 v48, 0x1000, v71
	ds_load_2addr_b32 v[42:43], v25 offset0:181 offset1:236
	ds_load_2addr_b32 v[40:41], v26 offset0:156 offset1:211
	;; [unrolled: 1-line block ×7, first 2 shown]
                                        ; implicit-def: $vgpr52
                                        ; implicit-def: $vgpr49
	s_and_saveexec_b32 s1, s0
	s_cbranch_execz .LBB0_21
; %bb.20:
	v_add_nc_u32_e32 v2, 0x340, v71
	v_add_nc_u32_e32 v8, 0xa80, v71
	ds_load_2addr_b32 v[2:3], v2 offset0:12 offset1:243
	ds_load_2addr_b32 v[48:49], v8 offset0:10 offset1:241
	ds_load_b32 v52, v71 offset:4576
.LBB0_21:
	s_wait_alu 0xfffe
	s_or_b32 exec_lo, exec_lo, s1
	v_and_b32_e32 v8, 0xff, v70
	v_add_nc_u32_e32 v55, 0xdc, v70
	s_delay_alu instid0(VALU_DEP_2) | instskip(NEXT) | instid1(VALU_DEP_2)
	v_mul_lo_u16 v8, 0x75, v8
	v_and_b32_e32 v51, 0xffff, v55
	s_delay_alu instid0(VALU_DEP_2) | instskip(NEXT) | instid1(VALU_DEP_2)
	v_lshrrev_b16 v8, 8, v8
	v_mul_u32_u24_e32 v51, 0xba2f, v51
	s_delay_alu instid0(VALU_DEP_2) | instskip(NEXT) | instid1(VALU_DEP_2)
	v_sub_nc_u16 v53, v70, v8
	v_lshrrev_b32_e32 v51, 19, v51
	s_delay_alu instid0(VALU_DEP_2) | instskip(NEXT) | instid1(VALU_DEP_2)
	v_lshrrev_b16 v53, 1, v53
	v_mul_lo_u16 v51, v51, 11
	s_delay_alu instid0(VALU_DEP_2) | instskip(NEXT) | instid1(VALU_DEP_2)
	v_and_b32_e32 v53, 0x7f, v53
	v_sub_nc_u16 v51, v55, v51
	s_delay_alu instid0(VALU_DEP_2) | instskip(NEXT) | instid1(VALU_DEP_2)
	v_add_nc_u16 v8, v53, v8
	v_and_b32_e32 v64, 0xffff, v51
	s_delay_alu instid0(VALU_DEP_2) | instskip(NEXT) | instid1(VALU_DEP_2)
	v_lshrrev_b16 v51, 3, v8
	v_lshlrev_b32_e32 v8, 5, v64
	s_delay_alu instid0(VALU_DEP_2)
	v_mul_lo_u16 v53, v51, 11
	s_clause 0x1
	global_load_b128 v[60:63], v8, s[4:5]
	global_load_b128 v[73:76], v8, s[4:5] offset:16
	v_and_b32_e32 v50, 0xff, v54
	v_sub_nc_u16 v53, v70, v53
	s_delay_alu instid0(VALU_DEP_2) | instskip(NEXT) | instid1(VALU_DEP_2)
	v_mul_lo_u16 v50, 0x75, v50
	v_and_b32_e32 v53, 0xff, v53
	s_delay_alu instid0(VALU_DEP_2) | instskip(NEXT) | instid1(VALU_DEP_2)
	v_lshrrev_b16 v50, 8, v50
	v_lshlrev_b32_e32 v66, 5, v53
	s_delay_alu instid0(VALU_DEP_2) | instskip(NEXT) | instid1(VALU_DEP_1)
	v_sub_nc_u16 v58, v54, v50
	v_lshrrev_b16 v58, 1, v58
	s_delay_alu instid0(VALU_DEP_1) | instskip(NEXT) | instid1(VALU_DEP_1)
	v_and_b32_e32 v58, 0x7f, v58
	v_add_nc_u16 v50, v58, v50
	s_delay_alu instid0(VALU_DEP_1) | instskip(NEXT) | instid1(VALU_DEP_1)
	v_lshrrev_b16 v50, 3, v50
	v_mul_lo_u16 v58, v50, 11
	s_delay_alu instid0(VALU_DEP_1) | instskip(SKIP_1) | instid1(VALU_DEP_2)
	v_sub_nc_u16 v8, v54, v58
	v_add_nc_u32_e32 v58, 0xa5, v70
	v_and_b32_e32 v65, 0xff, v8
	s_delay_alu instid0(VALU_DEP_1)
	v_lshlrev_b32_e32 v67, 5, v65
	s_clause 0x1
	global_load_b128 v[77:80], v66, s[4:5]
	global_load_b128 v[81:84], v67, s[4:5]
	v_and_b32_e32 v68, 0xff, v58
	v_add_nc_u32_e32 v59, 0x6e, v70
	v_and_b32_e32 v51, 0xffff, v51
	v_and_b32_e32 v50, 0xffff, v50
	s_delay_alu instid0(VALU_DEP_4) | instskip(NEXT) | instid1(VALU_DEP_4)
	v_mul_lo_u16 v68, 0x75, v68
	v_and_b32_e32 v8, 0xff, v59
	s_delay_alu instid0(VALU_DEP_4) | instskip(NEXT) | instid1(VALU_DEP_4)
	v_mul_u32_u24_e32 v51, 0xdc, v51
	v_mul_u32_u24_e32 v50, 0xdc, v50
	s_delay_alu instid0(VALU_DEP_4) | instskip(NEXT) | instid1(VALU_DEP_4)
	v_lshrrev_b16 v68, 8, v68
	v_mul_lo_u16 v69, 0x75, v8
	s_delay_alu instid0(VALU_DEP_2) | instskip(NEXT) | instid1(VALU_DEP_2)
	v_sub_nc_u16 v85, v58, v68
	v_lshrrev_b16 v69, 8, v69
	s_delay_alu instid0(VALU_DEP_2) | instskip(NEXT) | instid1(VALU_DEP_2)
	v_lshrrev_b16 v85, 1, v85
	v_sub_nc_u16 v72, v59, v69
	s_delay_alu instid0(VALU_DEP_2) | instskip(NEXT) | instid1(VALU_DEP_2)
	v_and_b32_e32 v85, 0x7f, v85
	v_lshrrev_b16 v72, 1, v72
	s_delay_alu instid0(VALU_DEP_2)
	v_add_nc_u16 v68, v85, v68
	s_clause 0x1
	global_load_b128 v[85:88], v66, s[4:5] offset:16
	global_load_b128 v[89:92], v67, s[4:5] offset:16
	v_and_b32_e32 v72, 0x7f, v72
	v_lshlrev_b32_e32 v65, 2, v65
	v_lshrrev_b16 v105, 3, v68
	s_delay_alu instid0(VALU_DEP_3) | instskip(NEXT) | instid1(VALU_DEP_2)
	v_add_nc_u16 v69, v72, v69
	v_mul_lo_u16 v72, v105, 11
	s_delay_alu instid0(VALU_DEP_2) | instskip(NEXT) | instid1(VALU_DEP_1)
	v_lshrrev_b16 v69, 3, v69
	v_mul_lo_u16 v68, v69, 11
	v_and_b32_e32 v69, 0xffff, v69
	s_delay_alu instid0(VALU_DEP_2) | instskip(NEXT) | instid1(VALU_DEP_2)
	v_sub_nc_u16 v68, v59, v68
	v_mul_u32_u24_e32 v101, 0xdc, v69
	v_add3_u32 v69, 0, v50, v65
	s_delay_alu instid0(VALU_DEP_3) | instskip(NEXT) | instid1(VALU_DEP_1)
	v_and_b32_e32 v68, 0xff, v68
	v_lshlrev_b32_e32 v97, 5, v68
	s_wait_loadcnt_dscnt 0x501
	v_dual_mul_f32 v66, v48, v63 :: v_dual_lshlrev_b32 v65, 2, v68
	s_wait_loadcnt 0x4
	v_mul_f32_e32 v67, v49, v74
	v_mul_f32_e32 v50, v1, v61
	s_wait_dscnt 0x0
	v_mul_f32_e32 v68, v52, v76
	v_dual_fmac_f32 v66, v56, v62 :: v_dual_lshlrev_b32 v53, 2, v53
	v_fmac_f32_e32 v67, v57, v73
	v_sub_nc_u16 v72, v58, v72
	s_delay_alu instid0(VALU_DEP_4) | instskip(NEXT) | instid1(VALU_DEP_2)
	v_fmac_f32_e32 v68, v27, v75
	v_and_b32_e32 v106, 0xff, v72
	v_add3_u32 v72, 0, v51, v53
	v_mul_f32_e32 v53, v3, v61
	v_fma_f32 v3, v3, v60, -v50
	v_mul_f32_e32 v51, v56, v63
	v_mul_f32_e32 v61, v57, v74
	s_delay_alu instid0(VALU_DEP_4) | instskip(SKIP_1) | instid1(VALU_DEP_4)
	v_fmac_f32_e32 v53, v1, v60
	v_mul_f32_e32 v1, v27, v76
	v_fma_f32 v50, v48, v62, -v51
	s_delay_alu instid0(VALU_DEP_4) | instskip(NEXT) | instid1(VALU_DEP_3)
	v_fma_f32 v51, v49, v73, -v61
	v_fma_f32 v1, v52, v75, -v1
	s_wait_loadcnt 0x3
	v_dual_mul_f32 v60, v44, v80 :: v_dual_mul_f32 v57, v46, v78
	v_dual_mul_f32 v27, v38, v78 :: v_dual_mul_f32 v52, v32, v80
	s_wait_loadcnt 0x2
	v_mul_f32_e32 v48, v47, v82
	s_delay_alu instid0(VALU_DEP_3)
	v_fmac_f32_e32 v60, v32, v79
	v_and_b32_e32 v32, 0xffff, v105
	v_fmac_f32_e32 v57, v38, v77
	v_fma_f32 v49, v46, v77, -v27
	v_mul_f32_e32 v27, v39, v82
	v_lshlrev_b32_e32 v38, 2, v106
	v_mul_u32_u24_e32 v32, 0xdc, v32
	v_fma_f32 v56, v44, v79, -v52
	v_mul_f32_e32 v46, v45, v84
	v_fmac_f32_e32 v48, v39, v81
	v_lshl_add_u32 v52, v64, 2, 0
	v_add3_u32 v74, 0, v32, v38
	v_fma_f32 v38, v47, v81, -v27
	v_mul_f32_e32 v27, v33, v84
	v_fmac_f32_e32 v46, v33, v83
	s_clause 0x1
	global_load_b128 v[93:96], v97, s[4:5]
	global_load_b128 v[97:100], v97, s[4:5] offset:16
	v_fma_f32 v44, v45, v83, -v27
	s_wait_loadcnt 0x3
	v_mul_f32_e32 v32, v21, v86
	s_wait_loadcnt 0x2
	v_mul_f32_e32 v47, v41, v92
	v_mul_f32_e32 v45, v43, v90
	v_dual_mul_f32 v63, v40, v88 :: v_dual_lshlrev_b32 v102, 5, v106
	v_add3_u32 v73, 0, v101, v65
	v_dual_mul_f32 v62, v42, v86 :: v_dual_mul_f32 v27, v19, v88
	s_clause 0x1
	global_load_b128 v[75:78], v102, s[4:5]
	global_load_b128 v[101:104], v102, s[4:5] offset:16
	v_dual_mul_f32 v33, v22, v90 :: v_dual_fmac_f32 v62, v21, v85
	v_mul_f32_e32 v39, v20, v92
	v_fmac_f32_e32 v63, v19, v87
	v_fma_f32 v61, v40, v87, -v27
	v_fmac_f32_e32 v45, v22, v89
	v_fma_f32 v40, v43, v89, -v33
	v_fma_f32 v42, v42, v85, -v32
	v_fmac_f32_e32 v47, v20, v91
	global_wb scope:SCOPE_SE
	s_wait_loadcnt 0x0
	s_barrier_signal -1
	s_barrier_wait -1
	global_inv scope:SCOPE_SE
	v_mul_f32_e32 v33, v36, v94
	v_mul_f32_e32 v27, v34, v96
	;; [unrolled: 1-line block ×4, first 2 shown]
	v_fma_f32 v41, v41, v91, -v39
	v_mul_f32_e32 v39, v25, v100
	s_delay_alu instid0(VALU_DEP_3) | instskip(NEXT) | instid1(VALU_DEP_1)
	v_dual_mul_f32 v79, v9, v100 :: v_dual_fmac_f32 v32, v11, v97
	v_fma_f32 v25, v25, v99, -v79
	v_dual_mul_f32 v19, v35, v78 :: v_dual_mul_f32 v22, v26, v104
	v_mul_f32_e32 v81, v10, v104
	v_mul_f32_e32 v65, v11, v98
	;; [unrolled: 1-line block ×8, first 2 shown]
	v_fmac_f32_e32 v22, v10, v103
	v_fma_f32 v10, v26, v103, -v81
	v_fmac_f32_e32 v20, v12, v101
	v_sub_f32_e32 v26, v49, v61
	v_fmac_f32_e32 v19, v14, v77
	v_add_f32_e32 v14, v4, v57
	v_fmac_f32_e32 v33, v15, v93
	v_fma_f32 v15, v36, v93, -v43
	v_fmac_f32_e32 v27, v13, v95
	v_fma_f32 v13, v34, v95, -v64
	v_fma_f32 v30, v30, v97, -v65
	v_fmac_f32_e32 v39, v9, v99
	v_dual_fmac_f32 v21, v16, v75 :: v_dual_add_f32 v64, v5, v48
	v_fma_f32 v9, v37, v75, -v76
	v_fma_f32 v11, v35, v77, -v78
	;; [unrolled: 1-line block ×3, first 2 shown]
	v_add_f32_e32 v16, v60, v62
	v_dual_sub_f32 v31, v56, v42 :: v_dual_sub_f32 v80, v46, v48
	v_dual_sub_f32 v34, v57, v60 :: v_dual_sub_f32 v35, v63, v62
	v_add_f32_e32 v14, v14, v60
	v_dual_add_f32 v36, v57, v63 :: v_dual_sub_f32 v37, v60, v57
	v_dual_sub_f32 v43, v62, v63 :: v_dual_sub_f32 v76, v44, v40
	v_add_f32_e32 v65, v46, v45
	v_dual_sub_f32 v77, v48, v46 :: v_dual_sub_f32 v78, v47, v45
	v_dual_add_f32 v79, v48, v47 :: v_dual_add_f32 v86, v19, v20
	v_dual_sub_f32 v81, v45, v47 :: v_dual_sub_f32 v88, v22, v20
	v_dual_sub_f32 v75, v38, v41 :: v_dual_add_f32 v82, v33, v39
	v_fma_f32 v16, -0.5, v16, v4
	v_add_f32_e32 v34, v34, v35
	v_fma_f32 v4, -0.5, v36, v4
	v_dual_add_f32 v36, v64, v46 :: v_dual_add_f32 v35, v37, v43
	v_dual_add_f32 v64, v80, v81 :: v_dual_add_f32 v43, v77, v78
	v_sub_f32_e32 v84, v32, v39
	v_sub_f32_e32 v80, v33, v27
	v_fma_f32 v37, -0.5, v65, v5
	v_dual_fmac_f32 v5, -0.5, v79 :: v_dual_sub_f32 v90, v19, v21
	v_dual_add_f32 v65, v6, v33 :: v_dual_sub_f32 v92, v9, v10
	v_sub_f32_e32 v81, v39, v32
	v_add_f32_e32 v77, v27, v32
	v_sub_f32_e32 v83, v27, v33
	v_add_f32_e32 v85, v7, v21
	v_sub_f32_e32 v87, v21, v19
	v_dual_add_f32 v89, v21, v22 :: v_dual_add_f32 v36, v36, v45
	v_dual_sub_f32 v91, v20, v22 :: v_dual_sub_f32 v78, v15, v25
	v_sub_f32_e32 v79, v13, v30
	v_dual_sub_f32 v93, v11, v12 :: v_dual_add_f32 v14, v14, v62
	v_dual_add_f32 v80, v80, v81 :: v_dual_add_f32 v81, v83, v84
	v_fma_f32 v84, -0.5, v86, v7
	v_fmamk_f32 v86, v26, 0xbf737871, v16
	v_dual_fmac_f32 v16, 0x3f737871, v26 :: v_dual_add_f32 v83, v87, v88
	v_dual_fmamk_f32 v88, v31, 0x3f737871, v4 :: v_dual_fmac_f32 v7, -0.5, v89
	v_fmac_f32_e32 v4, 0xbf737871, v31
	v_add_f32_e32 v87, v90, v91
	v_dual_fmamk_f32 v89, v75, 0xbf737871, v37 :: v_dual_add_f32 v14, v14, v63
	v_fmac_f32_e32 v37, 0x3f737871, v75
	v_fmamk_f32 v90, v76, 0x3f737871, v5
	v_fmac_f32_e32 v5, 0xbf737871, v76
	v_fma_f32 v77, -0.5, v77, v6
	v_add_f32_e32 v65, v65, v27
	v_fma_f32 v6, -0.5, v82, v6
	v_add_f32_e32 v82, v85, v19
	v_fmac_f32_e32 v86, 0xbf167918, v31
	v_fmac_f32_e32 v16, 0x3f167918, v31
	;; [unrolled: 1-line block ×4, first 2 shown]
	v_dual_fmac_f32 v89, 0xbf167918, v76 :: v_dual_fmac_f32 v90, 0xbf167918, v75
	v_add_f32_e32 v26, v36, v47
	v_fmac_f32_e32 v5, 0x3f167918, v75
	v_dual_fmamk_f32 v36, v78, 0xbf737871, v77 :: v_dual_add_f32 v31, v65, v32
	v_fmac_f32_e32 v77, 0x3f737871, v78
	v_fmamk_f32 v65, v79, 0x3f737871, v6
	v_fmac_f32_e32 v6, 0xbf737871, v79
	v_fmac_f32_e32 v37, 0x3f167918, v76
	v_dual_add_f32 v75, v82, v20 :: v_dual_fmamk_f32 v76, v92, 0xbf737871, v84
	v_fmac_f32_e32 v84, 0x3f737871, v92
	v_fmamk_f32 v82, v93, 0x3f737871, v7
	v_fmac_f32_e32 v7, 0xbf737871, v93
	v_dual_fmac_f32 v86, 0x3e9e377a, v34 :: v_dual_fmac_f32 v89, 0x3e9e377a, v43
	v_dual_fmac_f32 v36, 0xbf167918, v79 :: v_dual_fmac_f32 v65, 0xbf167918, v78
	v_dual_fmac_f32 v77, 0x3f167918, v79 :: v_dual_fmac_f32 v84, 0x3f167918, v93
	v_fmac_f32_e32 v6, 0x3f167918, v78
	v_fmac_f32_e32 v76, 0xbf167918, v93
	;; [unrolled: 1-line block ×4, first 2 shown]
	v_dual_fmac_f32 v16, 0x3e9e377a, v34 :: v_dual_fmac_f32 v37, 0x3e9e377a, v43
	v_dual_fmac_f32 v4, 0x3e9e377a, v35 :: v_dual_fmac_f32 v77, 0x3e9e377a, v80
	v_add_f32_e32 v34, v75, v22
	v_dual_fmac_f32 v88, 0x3e9e377a, v35 :: v_dual_fmac_f32 v5, 0x3e9e377a, v64
	v_dual_fmac_f32 v90, 0x3e9e377a, v64 :: v_dual_add_f32 v31, v31, v39
	v_dual_fmac_f32 v36, 0x3e9e377a, v80 :: v_dual_fmac_f32 v65, 0x3e9e377a, v81
	v_dual_fmac_f32 v6, 0x3e9e377a, v81 :: v_dual_fmac_f32 v7, 0x3e9e377a, v87
	v_fmac_f32_e32 v76, 0x3e9e377a, v83
	v_fmac_f32_e32 v84, 0x3e9e377a, v83
	;; [unrolled: 1-line block ×3, first 2 shown]
	ds_store_2addr_b32 v72, v14, v86 offset1:11
	ds_store_2addr_b32 v72, v88, v4 offset0:22 offset1:33
	ds_store_b32 v72, v16 offset:176
	ds_store_2addr_b32 v69, v26, v89 offset1:11
	ds_store_2addr_b32 v69, v90, v5 offset0:22 offset1:33
	ds_store_b32 v69, v37 offset:176
	ds_store_2addr_b32 v73, v31, v36 offset1:11
	ds_store_2addr_b32 v73, v65, v6 offset0:22 offset1:33
	ds_store_b32 v73, v77 offset:176
	ds_store_2addr_b32 v74, v34, v76 offset1:11
	ds_store_2addr_b32 v74, v82, v7 offset0:22 offset1:33
	ds_store_b32 v74, v84 offset:176
	s_and_saveexec_b32 s1, s0
	s_cbranch_execz .LBB0_23
; %bb.22:
	v_dual_add_f32 v4, v53, v68 :: v_dual_sub_f32 v5, v66, v53
	v_dual_sub_f32 v6, v67, v68 :: v_dual_add_f32 v7, v66, v67
	v_sub_f32_e32 v14, v50, v51
	s_delay_alu instid0(VALU_DEP_3) | instskip(NEXT) | instid1(VALU_DEP_3)
	v_fma_f32 v4, -0.5, v4, v0
	v_dual_sub_f32 v16, v3, v1 :: v_dual_add_f32 v5, v5, v6
	v_sub_f32_e32 v31, v68, v67
	v_add_f32_e32 v26, v0, v53
	v_fma_f32 v0, -0.5, v7, v0
	v_dual_fmamk_f32 v6, v14, 0xbf737871, v4 :: v_dual_sub_f32 v7, v53, v66
	v_fmac_f32_e32 v4, 0x3f737871, v14
	s_delay_alu instid0(VALU_DEP_3) | instskip(NEXT) | instid1(VALU_DEP_3)
	v_fmamk_f32 v34, v16, 0x3f737871, v0
	v_dual_fmac_f32 v0, 0xbf737871, v16 :: v_dual_add_f32 v7, v7, v31
	v_add_f32_e32 v26, v26, v66
	v_fmac_f32_e32 v6, 0x3f167918, v16
	v_fmac_f32_e32 v4, 0xbf167918, v16
	s_delay_alu instid0(VALU_DEP_4)
	v_fmac_f32_e32 v0, 0xbf167918, v14
	v_fmac_f32_e32 v34, 0x3f167918, v14
	v_add_f32_e32 v26, v26, v67
	v_add_nc_u32_e32 v16, 0x1000, v52
	v_fmac_f32_e32 v6, 0x3e9e377a, v5
	v_fmac_f32_e32 v0, 0x3e9e377a, v7
	;; [unrolled: 1-line block ×3, first 2 shown]
	v_add_f32_e32 v14, v26, v68
	v_fmac_f32_e32 v34, 0x3e9e377a, v7
	ds_store_2addr_b32 v16, v14, v0 offset0:76 offset1:87
	ds_store_2addr_b32 v16, v4, v6 offset0:98 offset1:109
	ds_store_b32 v52, v34 offset:4576
.LBB0_23:
	s_wait_alu 0xfffe
	s_or_b32 exec_lo, exec_lo, s1
	v_dual_add_f32 v0, v56, v42 :: v_dual_sub_f32 v5, v57, v63
	v_dual_sub_f32 v6, v60, v62 :: v_dual_sub_f32 v7, v49, v56
	v_add_f32_e32 v34, v44, v40
	s_delay_alu instid0(VALU_DEP_3)
	v_fma_f32 v0, -0.5, v0, v17
	v_sub_f32_e32 v26, v56, v49
	v_add_nc_u32_e32 v62, 0xc00, v71
	v_add_nc_u32_e32 v57, 0x200, v71
	;; [unrolled: 1-line block ×3, first 2 shown]
	v_fmamk_f32 v43, v5, 0x3f737871, v0
	v_add_f32_e32 v16, v49, v61
	v_dual_fmac_f32 v0, 0xbf737871, v5 :: v_dual_add_f32 v31, v18, v38
	v_add_nc_u32_e32 v64, 0xa00, v71
	s_delay_alu instid0(VALU_DEP_4)
	v_fmac_f32_e32 v43, 0x3f167918, v6
	v_sub_f32_e32 v14, v61, v42
	v_add_f32_e32 v4, v17, v49
	v_fmac_f32_e32 v0, 0xbf167918, v6
	v_add_nc_u32_e32 v63, 0x1000, v71
	v_sub_f32_e32 v35, v41, v40
	v_add_f32_e32 v7, v7, v14
	v_fma_f32 v14, -0.5, v16, v17
	v_add_f32_e32 v4, v4, v56
	v_sub_f32_e32 v16, v42, v61
	v_lshl_add_u32 v56, v70, 2, 0
	v_fmac_f32_e32 v43, 0x3e9e377a, v7
	v_fmamk_f32 v17, v6, 0xbf737871, v14
	v_fmac_f32_e32 v14, 0x3f737871, v6
	v_add_f32_e32 v6, v31, v44
	v_dual_add_f32 v4, v4, v42 :: v_dual_sub_f32 v31, v46, v45
	s_delay_alu instid0(VALU_DEP_4) | instskip(NEXT) | instid1(VALU_DEP_3)
	v_fmac_f32_e32 v17, 0x3f167918, v5
	v_dual_fmac_f32 v14, 0xbf167918, v5 :: v_dual_add_f32 v5, v6, v40
	v_dual_fmac_f32 v0, 0x3e9e377a, v7 :: v_dual_add_f32 v7, v38, v41
	v_fma_f32 v42, -0.5, v34, v18
	v_sub_f32_e32 v34, v38, v44
	v_sub_f32_e32 v27, v27, v32
	v_dual_add_f32 v16, v26, v16 :: v_dual_add_f32 v5, v5, v41
	v_fmac_f32_e32 v18, -0.5, v7
	s_delay_alu instid0(VALU_DEP_4) | instskip(SKIP_4) | instid1(VALU_DEP_4)
	v_dual_add_f32 v7, v34, v35 :: v_dual_sub_f32 v34, v44, v38
	v_sub_f32_e32 v35, v40, v41
	v_sub_f32_e32 v33, v33, v39
	v_add_f32_e32 v36, v13, v30
	v_dual_add_f32 v4, v4, v61 :: v_dual_fmac_f32 v17, 0x3e9e377a, v16
	v_add_f32_e32 v34, v34, v35
	v_add_f32_e32 v35, v23, v15
	v_sub_f32_e32 v26, v48, v47
	v_fmac_f32_e32 v14, 0x3e9e377a, v16
	v_fma_f32 v75, -0.5, v36, v23
	v_fmamk_f32 v16, v31, 0xbf737871, v18
	v_fmac_f32_e32 v18, 0x3f737871, v31
	v_fmamk_f32 v6, v26, 0x3f737871, v42
	v_fmac_f32_e32 v42, 0xbf737871, v26
	v_dual_fmamk_f32 v76, v33, 0x3f737871, v75 :: v_dual_sub_f32 v19, v19, v20
	v_fmac_f32_e32 v75, 0xbf737871, v33
	s_delay_alu instid0(VALU_DEP_4) | instskip(NEXT) | instid1(VALU_DEP_4)
	v_fmac_f32_e32 v6, 0x3f167918, v31
	v_dual_fmac_f32 v42, 0xbf167918, v31 :: v_dual_sub_f32 v31, v15, v13
	s_delay_alu instid0(VALU_DEP_4) | instskip(NEXT) | instid1(VALU_DEP_4)
	v_fmac_f32_e32 v76, 0x3f167918, v27
	v_fmac_f32_e32 v75, 0xbf167918, v27
	s_delay_alu instid0(VALU_DEP_4) | instskip(NEXT) | instid1(VALU_DEP_4)
	v_fmac_f32_e32 v6, 0x3e9e377a, v7
	v_dual_fmac_f32 v42, 0x3e9e377a, v7 :: v_dual_sub_f32 v21, v21, v22
	v_add_f32_e32 v7, v35, v13
	v_dual_add_f32 v35, v15, v25 :: v_dual_fmac_f32 v16, 0x3f167918, v26
	v_sub_f32_e32 v13, v13, v15
	v_sub_f32_e32 v15, v30, v25
	s_delay_alu instid0(VALU_DEP_4) | instskip(NEXT) | instid1(VALU_DEP_4)
	v_add_f32_e32 v7, v7, v30
	v_fma_f32 v23, -0.5, v35, v23
	v_sub_f32_e32 v32, v25, v30
	global_wb scope:SCOPE_SE
	s_wait_dscnt 0x0
	v_add_f32_e32 v13, v13, v15
	v_add_f32_e32 v7, v7, v25
	v_fmamk_f32 v77, v27, 0xbf737871, v23
	v_fmac_f32_e32 v23, 0x3f737871, v27
	v_dual_add_f32 v25, v24, v9 :: v_dual_add_f32 v30, v11, v12
	s_delay_alu instid0(VALU_DEP_3) | instskip(NEXT) | instid1(VALU_DEP_2)
	v_dual_sub_f32 v20, v9, v11 :: v_dual_fmac_f32 v77, 0x3f167918, v33
	v_dual_fmac_f32 v16, 0x3e9e377a, v34 :: v_dual_add_f32 v15, v25, v11
	s_delay_alu instid0(VALU_DEP_3) | instskip(SKIP_1) | instid1(VALU_DEP_4)
	v_fma_f32 v78, -0.5, v30, v24
	v_fmac_f32_e32 v23, 0xbf167918, v33
	v_fmac_f32_e32 v77, 0x3e9e377a, v13
	v_add_f32_e32 v25, v9, v10
	v_dual_add_f32 v15, v15, v12 :: v_dual_fmac_f32 v18, 0xbf167918, v26
	v_add_f32_e32 v26, v31, v32
	v_fmamk_f32 v22, v21, 0x3f737871, v78
	v_fmac_f32_e32 v23, 0x3e9e377a, v13
	s_delay_alu instid0(VALU_DEP_4)
	v_add_f32_e32 v13, v15, v10
	v_fmac_f32_e32 v18, 0x3e9e377a, v34
	v_dual_fmac_f32 v76, 0x3e9e377a, v26 :: v_dual_sub_f32 v9, v11, v9
	v_dual_fmac_f32 v75, 0x3e9e377a, v26 :: v_dual_sub_f32 v26, v10, v12
	v_dual_sub_f32 v10, v12, v10 :: v_dual_add_nc_u32 v61, 0x600, v71
	v_add_nc_u32_e32 v27, 0x800, v71
	s_barrier_signal -1
	s_barrier_wait -1
	s_delay_alu instid0(VALU_DEP_2)
	v_dual_add_f32 v9, v9, v10 :: v_dual_fmac_f32 v24, -0.5, v25
	v_add_f32_e32 v15, v20, v26
	global_inv scope:SCOPE_SE
	ds_load_2addr_b32 v[34:35], v71 offset1:55
	ds_load_2addr_b32 v[25:26], v71 offset0:110 offset1:165
	ds_load_b32 v65, v56 offset:1320
	ds_load_2addr_b32 v[48:49], v61 offset0:111 offset1:166
	ds_load_2addr_b32 v[30:31], v27 offset0:93 offset1:148
	ds_load_2addr_b32 v[46:47], v62 offset0:57 offset1:112
	ds_load_2addr_b32 v[32:33], v62 offset0:167 offset1:222
	ds_load_2addr_b32 v[44:45], v57 offset0:92 offset1:147
	ds_load_2addr_b32 v[40:41], v60 offset0:129 offset1:184
	ds_load_2addr_b32 v[38:39], v64 offset0:75 offset1:130
	ds_load_2addr_b32 v[36:37], v63 offset0:21 offset1:76
	v_fmac_f32_e32 v78, 0xbf737871, v21
	v_fmamk_f32 v20, v19, 0xbf737871, v24
	v_fmac_f32_e32 v24, 0x3f737871, v19
	v_fmac_f32_e32 v22, 0x3f167918, v19
	global_wb scope:SCOPE_SE
	s_wait_dscnt 0x0
	v_fmac_f32_e32 v78, 0xbf167918, v19
	v_fmac_f32_e32 v20, 0x3f167918, v21
	;; [unrolled: 1-line block ×4, first 2 shown]
	s_barrier_signal -1
	v_fmac_f32_e32 v78, 0x3e9e377a, v15
	v_fmac_f32_e32 v20, 0x3e9e377a, v9
	;; [unrolled: 1-line block ×3, first 2 shown]
	s_barrier_wait -1
	global_inv scope:SCOPE_SE
	ds_store_2addr_b32 v72, v4, v43 offset1:11
	ds_store_2addr_b32 v72, v17, v14 offset0:22 offset1:33
	ds_store_b32 v72, v0 offset:176
	ds_store_2addr_b32 v69, v5, v6 offset1:11
	ds_store_2addr_b32 v69, v16, v18 offset0:22 offset1:33
	ds_store_b32 v69, v42 offset:176
	;; [unrolled: 3-line block ×4, first 2 shown]
	s_and_saveexec_b32 s1, s0
	s_cbranch_execz .LBB0_25
; %bb.24:
	v_dual_add_f32 v0, v50, v51 :: v_dual_sub_f32 v5, v53, v68
	v_dual_add_f32 v4, v2, v3 :: v_dual_add_f32 v7, v3, v1
	v_dual_sub_f32 v6, v66, v67 :: v_dual_sub_f32 v9, v3, v50
	s_delay_alu instid0(VALU_DEP_3) | instskip(NEXT) | instid1(VALU_DEP_3)
	v_fma_f32 v0, -0.5, v0, v2
	v_add_f32_e32 v4, v4, v50
	s_delay_alu instid0(VALU_DEP_4) | instskip(SKIP_1) | instid1(VALU_DEP_3)
	v_fmac_f32_e32 v2, -0.5, v7
	v_dual_sub_f32 v10, v1, v51 :: v_dual_sub_f32 v11, v51, v1
	v_dual_fmamk_f32 v7, v5, 0x3f737871, v0 :: v_dual_add_f32 v4, v4, v51
	s_delay_alu instid0(VALU_DEP_2) | instskip(NEXT) | instid1(VALU_DEP_2)
	v_dual_fmac_f32 v0, 0xbf737871, v5 :: v_dual_add_f32 v9, v9, v10
	v_fmac_f32_e32 v7, 0x3f167918, v6
	v_sub_f32_e32 v3, v50, v3
	v_fmamk_f32 v12, v6, 0xbf737871, v2
	v_dual_fmac_f32 v2, 0x3f737871, v6 :: v_dual_add_f32 v1, v4, v1
	s_delay_alu instid0(VALU_DEP_3) | instskip(NEXT) | instid1(VALU_DEP_3)
	v_dual_fmac_f32 v0, 0xbf167918, v6 :: v_dual_add_f32 v3, v3, v11
	v_fmac_f32_e32 v12, 0x3f167918, v5
	s_delay_alu instid0(VALU_DEP_3)
	v_fmac_f32_e32 v2, 0xbf167918, v5
	v_fmac_f32_e32 v7, 0x3e9e377a, v9
	v_add_nc_u32_e32 v4, 0x1000, v52
	v_fmac_f32_e32 v0, 0x3e9e377a, v9
	v_fmac_f32_e32 v12, 0x3e9e377a, v3
	;; [unrolled: 1-line block ×3, first 2 shown]
	ds_store_2addr_b32 v4, v1, v7 offset0:76 offset1:87
	ds_store_2addr_b32 v4, v12, v2 offset0:98 offset1:109
	ds_store_b32 v52, v0 offset:4576
.LBB0_25:
	s_wait_alu 0xfffe
	s_or_b32 exec_lo, exec_lo, s1
	v_mul_u32_u24_e32 v0, 6, v70
	global_wb scope:SCOPE_SE
	s_wait_dscnt 0x0
	s_barrier_signal -1
	s_barrier_wait -1
	global_inv scope:SCOPE_SE
	v_lshlrev_b32_e32 v0, 3, v0
	s_clause 0x2
	global_load_b128 v[20:23], v0, s[4:5] offset:352
	global_load_b128 v[16:19], v0, s[4:5] offset:368
	;; [unrolled: 1-line block ×3, first 2 shown]
	v_mul_lo_u16 v0, 0x95, v8
	s_delay_alu instid0(VALU_DEP_1) | instskip(NEXT) | instid1(VALU_DEP_1)
	v_lshrrev_b16 v0, 13, v0
	v_mul_lo_u16 v0, v0, 55
	s_delay_alu instid0(VALU_DEP_1) | instskip(SKIP_1) | instid1(VALU_DEP_1)
	v_sub_nc_u16 v0, v59, v0
	s_wait_loadcnt 0x2
	v_dual_mul_f32 v89, v65, v23 :: v_dual_and_b32 v24, 0xff, v0
	s_delay_alu instid0(VALU_DEP_1) | instskip(SKIP_1) | instid1(VALU_DEP_2)
	v_mul_u32_u24_e32 v0, 6, v24
	v_lshl_add_u32 v24, v24, 2, 0
	v_dual_mul_f32 v87, v26, v21 :: v_dual_lshlrev_b32 v0, 3, v0
	s_delay_alu instid0(VALU_DEP_2)
	v_add_nc_u32_e32 v66, 0xc00, v24
	s_clause 0x2
	global_load_b128 v[8:11], v0, s[4:5] offset:352
	global_load_b128 v[4:7], v0, s[4:5] offset:368
	;; [unrolled: 1-line block ×3, first 2 shown]
	ds_load_2addr_b32 v[42:43], v71 offset0:110 offset1:165
	ds_load_b32 v68, v56 offset:1320
	ds_load_2addr_b32 v[52:53], v61 offset0:111 offset1:166
	ds_load_2addr_b32 v[50:51], v57 offset0:92 offset1:147
	;; [unrolled: 1-line block ×3, first 2 shown]
	ds_load_2addr_b32 v[74:75], v71 offset1:55
	ds_load_2addr_b32 v[76:77], v27 offset0:93 offset1:148
	ds_load_2addr_b32 v[78:79], v62 offset0:57 offset1:112
	;; [unrolled: 1-line block ×5, first 2 shown]
	v_add_nc_u32_e32 v69, 0x200, v56
	s_wait_loadcnt 0x4
	v_dual_mul_f32 v94, v48, v17 :: v_dual_add_nc_u32 v67, 0xe00, v24
	global_wb scope:SCOPE_SE
	s_wait_loadcnt_dscnt 0x0
	s_barrier_signal -1
	s_barrier_wait -1
	global_inv scope:SCOPE_SE
	v_mul_f32_e32 v86, v43, v21
	v_mul_f32_e32 v88, v68, v23
	;; [unrolled: 1-line block ×5, first 2 shown]
	v_dual_mul_f32 v92, v72, v23 :: v_dual_mul_f32 v93, v53, v17
	v_dual_mul_f32 v23, v40, v23 :: v_dual_fmac_f32 v88, v65, v22
	v_fma_f32 v68, v68, v22, -v89
	v_dual_mul_f32 v17, v49, v17 :: v_dual_fmac_f32 v86, v26, v20
	v_fma_f32 v26, v43, v20, -v87
	v_fmac_f32_e32 v91, v44, v20
	v_fma_f32 v20, v50, v20, -v21
	v_fmac_f32_e32 v92, v40, v22
	v_fma_f32 v21, v72, v22, -v23
	v_mul_f32_e32 v22, v31, v19
	v_mul_f32_e32 v65, v77, v19
	;; [unrolled: 1-line block ×4, first 2 shown]
	v_dual_mul_f32 v40, v78, v13 :: v_dual_fmac_f32 v93, v49, v16
	v_dual_fmac_f32 v90, v48, v16 :: v_dual_mul_f32 v43, v79, v13
	v_mul_f32_e32 v44, v46, v13
	v_fma_f32 v48, v52, v16, -v94
	v_fma_f32 v16, v53, v16, -v17
	v_mul_f32_e32 v17, v81, v15
	v_fma_f32 v22, v77, v18, -v22
	v_dual_mul_f32 v13, v47, v13 :: v_dual_fmac_f32 v40, v46, v12
	v_fmac_f32_e32 v23, v38, v18
	v_fma_f32 v38, v78, v12, -v44
	v_fmac_f32_e32 v17, v33, v14
	v_add_f32_e32 v44, v48, v22
	v_dual_sub_f32 v22, v22, v48 :: v_dual_fmac_f32 v65, v31, v18
	v_fma_f32 v18, v82, v18, -v19
	v_mul_f32_e32 v19, v33, v15
	v_mul_f32_e32 v31, v84, v15
	;; [unrolled: 1-line block ×3, first 2 shown]
	v_fmac_f32_e32 v43, v47, v12
	v_fma_f32 v12, v79, v12, -v13
	v_add_f32_e32 v33, v68, v38
	v_fmac_f32_e32 v31, v36, v14
	v_sub_f32_e32 v36, v88, v40
	v_fma_f32 v19, v81, v14, -v19
	v_fma_f32 v13, v84, v14, -v15
	v_add_f32_e32 v14, v86, v17
	v_dual_sub_f32 v38, v68, v38 :: v_dual_sub_f32 v17, v86, v17
	s_delay_alu instid0(VALU_DEP_3)
	v_dual_add_f32 v15, v26, v19 :: v_dual_add_f32 v48, v20, v13
	v_dual_sub_f32 v19, v26, v19 :: v_dual_add_f32 v50, v16, v18
	v_add_f32_e32 v26, v88, v40
	v_add_f32_e32 v40, v90, v65
	v_sub_f32_e32 v46, v65, v90
	v_add_f32_e32 v49, v21, v12
	v_dual_sub_f32 v12, v21, v12 :: v_dual_add_f32 v47, v91, v31
	v_dual_sub_f32 v16, v18, v16 :: v_dual_sub_f32 v13, v20, v13
	v_add_f32_e32 v52, v33, v15
	v_dual_add_f32 v20, v92, v43 :: v_dual_sub_f32 v53, v26, v14
	v_dual_sub_f32 v31, v91, v31 :: v_dual_add_f32 v18, v26, v14
	v_dual_sub_f32 v43, v92, v43 :: v_dual_sub_f32 v14, v14, v40
	v_dual_add_f32 v21, v93, v23 :: v_dual_add_f32 v68, v46, v36
	v_dual_sub_f32 v23, v23, v93 :: v_dual_sub_f32 v78, v46, v36
	v_dual_sub_f32 v65, v33, v15 :: v_dual_sub_f32 v26, v40, v26
	v_dual_add_f32 v77, v22, v38 :: v_dual_sub_f32 v36, v36, v17
	v_sub_f32_e32 v79, v22, v38
	v_dual_sub_f32 v15, v15, v44 :: v_dual_sub_f32 v46, v17, v46
	v_sub_f32_e32 v22, v19, v22
	v_sub_f32_e32 v38, v38, v19
	v_add_f32_e32 v18, v40, v18
	v_dual_sub_f32 v40, v49, v48 :: v_dual_add_f32 v17, v68, v17
	v_dual_add_f32 v68, v16, v12 :: v_dual_add_f32 v19, v77, v19
	v_sub_f32_e32 v77, v23, v43
	v_mul_f32_e32 v79, 0x3f08b237, v79
	v_mul_f32_e32 v14, 0x3f4a47b2, v14
	;; [unrolled: 1-line block ×6, first 2 shown]
	v_sub_f32_e32 v33, v44, v33
	v_add_f32_e32 v44, v44, v52
	v_dual_fmac_f32 v72, v45, v8 :: v_dual_add_f32 v45, v20, v47
	s_delay_alu instid0(VALU_DEP_4)
	v_fma_f32 v8, v51, v8, -v9
	v_add_f32_e32 v9, v49, v48
	v_sub_f32_e32 v51, v20, v47
	v_dual_sub_f32 v47, v47, v21 :: v_dual_sub_f32 v48, v48, v50
	v_dual_sub_f32 v20, v21, v20 :: v_dual_sub_f32 v49, v50, v49
	v_dual_add_f32 v52, v23, v43 :: v_dual_add_f32 v21, v21, v45
	v_sub_f32_e32 v45, v16, v12
	v_sub_f32_e32 v12, v12, v13
	v_dual_add_f32 v9, v50, v9 :: v_dual_mul_f32 v50, v73, v11
	v_mul_f32_e32 v11, v41, v11
	v_dual_sub_f32 v23, v31, v23 :: v_dual_sub_f32 v16, v13, v16
	s_delay_alu instid0(VALU_DEP_3) | instskip(SKIP_3) | instid1(VALU_DEP_4)
	v_dual_sub_f32 v43, v43, v31 :: v_dual_fmac_f32 v50, v41, v10
	v_dual_mul_f32 v15, 0x3f4a47b2, v15 :: v_dual_mul_f32 v48, 0x3f4a47b2, v48
	v_dual_add_f32 v31, v52, v31 :: v_dual_mul_f32 v52, 0x3d64c772, v26
	v_dual_mul_f32 v41, 0x3d64c772, v33 :: v_dual_fmamk_f32 v26, v26, 0x3d64c772, v14
	v_dual_add_f32 v13, v68, v13 :: v_dual_mul_f32 v82, 0xbf5ff5aa, v43
	v_mul_f32_e32 v68, 0xbf5ff5aa, v36
	v_mul_f32_e32 v84, 0xbf5ff5aa, v12
	v_fma_f32 v10, v73, v10, -v11
	v_mul_f32_e32 v11, 0xbf5ff5aa, v38
	v_mul_f32_e32 v47, 0x3f4a47b2, v47
	v_dual_mul_f32 v81, 0x3d64c772, v49 :: v_dual_add_f32 v74, v74, v44
	v_dual_mul_f32 v77, 0x3f08b237, v77 :: v_dual_fmac_f32 v86, v30, v4
	v_fma_f32 v52, 0x3f3bfb3b, v53, -v52
	v_fma_f32 v14, 0xbf3bfb3b, v53, -v14
	v_fmamk_f32 v33, v33, 0x3d64c772, v15
	v_fma_f32 v41, 0x3f3bfb3b, v65, -v41
	v_fma_f32 v15, 0xbf3bfb3b, v65, -v15
	v_mul_f32_e32 v53, v83, v7
	v_fmamk_f32 v65, v46, 0xbeae86e6, v78
	v_fma_f32 v46, 0x3eae86e6, v46, -v68
	v_fmamk_f32 v68, v22, 0xbeae86e6, v79
	v_fma_f32 v11, 0x3eae86e6, v22, -v11
	v_dual_add_f32 v22, v34, v18 :: v_dual_mul_f32 v73, 0x3d64c772, v20
	v_dual_fmamk_f32 v20, v20, 0x3d64c772, v47 :: v_dual_mul_f32 v5, v30, v5
	v_fma_f32 v36, 0xbf5ff5aa, v36, -v78
	v_fma_f32 v38, 0xbf5ff5aa, v38, -v79
	v_add_f32_e32 v34, v35, v21
	v_fma_f32 v35, 0x3f3bfb3b, v51, -v73
	v_fma_f32 v47, 0xbf3bfb3b, v51, -v47
	s_delay_alu instid0(VALU_DEP_4)
	v_dual_mul_f32 v51, v80, v1 :: v_dual_fmac_f32 v38, 0xbee1c552, v19
	v_fmamk_f32 v49, v49, 0x3d64c772, v48
	v_fma_f32 v73, 0x3f3bfb3b, v40, -v81
	v_fma_f32 v40, 0xbf3bfb3b, v40, -v48
	v_mul_f32_e32 v1, v32, v1
	v_fma_f32 v43, 0xbf5ff5aa, v43, -v77
	v_dual_fmamk_f32 v48, v23, 0xbeae86e6, v77 :: v_dual_mul_f32 v77, v85, v3
	v_dual_fmac_f32 v36, 0xbee1c552, v17 :: v_dual_mul_f32 v3, v37, v3
	v_dual_fmac_f32 v46, 0xbee1c552, v17 :: v_dual_fmac_f32 v51, v32, v0
	v_fma_f32 v0, v80, v0, -v1
	v_mul_f32_e32 v7, v39, v7
	s_delay_alu instid0(VALU_DEP_4) | instskip(SKIP_4) | instid1(VALU_DEP_4)
	v_fma_f32 v1, v85, v2, -v3
	v_fmamk_f32 v3, v44, 0xbf955555, v74
	v_mul_f32_e32 v45, 0x3f08b237, v45
	v_dual_add_f32 v75, v75, v9 :: v_dual_fmac_f32 v68, 0xbee1c552, v19
	v_dual_fmac_f32 v77, v37, v2 :: v_dual_fmamk_f32 v2, v18, 0xbf955555, v22
	v_add_f32_e32 v18, v41, v3
	s_delay_alu instid0(VALU_DEP_4)
	v_fma_f32 v12, 0xbf5ff5aa, v12, -v45
	v_fma_f32 v23, 0x3eae86e6, v23, -v82
	;; [unrolled: 1-line block ×3, first 2 shown]
	v_dual_fmac_f32 v53, v39, v6 :: v_dual_fmac_f32 v48, 0xbee1c552, v31
	v_fma_f32 v5, v83, v6, -v7
	v_fmac_f32_e32 v11, 0xbee1c552, v19
	v_fmamk_f32 v6, v21, 0xbf955555, v34
	v_fmamk_f32 v7, v9, 0xbf955555, v75
	;; [unrolled: 1-line block ×3, first 2 shown]
	v_fma_f32 v16, 0x3eae86e6, v16, -v84
	v_fmac_f32_e32 v12, 0xbee1c552, v13
	v_dual_fmac_f32 v65, 0xbee1c552, v17 :: v_dual_sub_f32 v32, v50, v51
	v_add_f32_e32 v9, v26, v2
	v_add_f32_e32 v17, v52, v2
	v_dual_add_f32 v2, v14, v2 :: v_dual_fmac_f32 v43, 0xbee1c552, v31
	v_dual_fmac_f32 v23, 0xbee1c552, v31 :: v_dual_fmac_f32 v16, 0xbee1c552, v13
	v_add_f32_e32 v14, v20, v6
	v_dual_add_f32 v26, v8, v1 :: v_dual_add_f32 v19, v35, v6
	v_add_f32_e32 v6, v47, v6
	v_sub_f32_e32 v30, v72, v77
	v_dual_add_f32 v20, v73, v7 :: v_dual_fmac_f32 v45, 0xbee1c552, v13
	v_dual_add_f32 v37, v11, v2 :: v_dual_sub_f32 v2, v2, v11
	v_add_f32_e32 v31, v10, v0
	v_dual_sub_f32 v1, v8, v1 :: v_dual_add_f32 v8, v50, v51
	v_add_f32_e32 v13, v33, v3
	v_add_f32_e32 v3, v15, v3
	v_add_f32_e32 v15, v49, v7
	v_add_f32_e32 v7, v40, v7
	v_dual_add_f32 v33, v4, v5 :: v_dual_sub_f32 v4, v5, v4
	v_dual_add_f32 v21, v72, v77 :: v_dual_sub_f32 v0, v10, v0
	;; [unrolled: 1-line block ×3, first 2 shown]
	v_add_f32_e32 v72, v36, v18
	v_sub_f32_e32 v52, v13, v65
	v_dual_add_f32 v5, v68, v9 :: v_dual_sub_f32 v18, v18, v36
	v_add_f32_e32 v11, v65, v13
	v_add_f32_e32 v13, v45, v14
	v_add_f32_e32 v36, v16, v6
	v_sub_f32_e32 v53, v3, v46
	v_add_f32_e32 v73, v43, v20
	v_sub_f32_e32 v6, v6, v16
	v_dual_sub_f32 v14, v14, v45 :: v_dual_sub_f32 v39, v17, v38
	v_dual_sub_f32 v44, v35, v32 :: v_dual_add_f32 v17, v38, v17
	v_sub_f32_e32 v38, v19, v12
	v_add_f32_e32 v12, v12, v19
	v_dual_sub_f32 v40, v31, v26 :: v_dual_sub_f32 v19, v20, v43
	v_dual_add_f32 v20, v31, v26 :: v_dual_sub_f32 v9, v9, v68
	v_sub_f32_e32 v68, v7, v23
	v_add_f32_e32 v16, v8, v21
	v_sub_f32_e32 v26, v26, v33
	v_add_f32_e32 v3, v46, v3
	v_sub_f32_e32 v31, v33, v31
	v_dual_add_f32 v41, v35, v32 :: v_dual_sub_f32 v32, v32, v30
	s_delay_alu instid0(VALU_DEP_4)
	v_dual_add_f32 v7, v23, v7 :: v_dual_mul_f32 v26, 0x3f4a47b2, v26
	v_sub_f32_e32 v23, v8, v21
	v_dual_sub_f32 v21, v21, v10 :: v_dual_sub_f32 v8, v10, v8
	v_add_f32_e32 v10, v10, v16
	v_sub_f32_e32 v65, v15, v48
	v_add_f32_e32 v15, v48, v15
	v_add_f32_e32 v43, v4, v0
	v_sub_f32_e32 v45, v4, v0
	v_sub_f32_e32 v4, v1, v4
	;; [unrolled: 1-line block ×3, first 2 shown]
	v_add_f32_e32 v16, v33, v20
	v_dual_add_f32 v20, v41, v30 :: v_dual_sub_f32 v35, v30, v35
	v_mul_f32_e32 v30, 0x3d64c772, v8
	ds_store_2addr_b32 v71, v22, v5 offset1:55
	ds_store_2addr_b32 v71, v37, v39 offset0:110 offset1:165
	ds_store_2addr_b32 v57, v17, v2 offset0:92 offset1:147
	;; [unrolled: 1-line block ×6, first 2 shown]
	v_dual_add_f32 v2, v25, v10 :: v_dual_add_f32 v5, v42, v16
	v_fma_f32 v14, 0xbf3bfb3b, v40, -v26
	s_delay_alu instid0(VALU_DEP_2) | instskip(SKIP_1) | instid1(VALU_DEP_4)
	v_fmamk_f32 v10, v10, 0xbf955555, v2
	v_mul_f32_e32 v21, 0x3f4a47b2, v21
	v_fmamk_f32 v16, v16, 0xbf955555, v5
	s_delay_alu instid0(VALU_DEP_2)
	v_fmamk_f32 v6, v8, 0x3d64c772, v21
	v_fmamk_f32 v8, v31, 0x3d64c772, v26
	v_add_f32_e32 v1, v43, v1
	v_mul_f32_e32 v43, 0x3f08b237, v45
	v_mul_f32_e32 v45, 0xbf5ff5aa, v0
	v_fma_f32 v13, 0xbf3bfb3b, v23, -v21
	v_mul_f32_e32 v33, 0x3d64c772, v31
	v_fma_f32 v9, 0x3f3bfb3b, v23, -v30
	v_fmamk_f32 v21, v4, 0xbeae86e6, v43
	v_fma_f32 v0, 0xbf5ff5aa, v0, -v43
	v_fma_f32 v4, 0x3eae86e6, v4, -v45
	s_delay_alu instid0(VALU_DEP_2) | instskip(NEXT) | instid1(VALU_DEP_4)
	v_fmac_f32_e32 v0, 0xbee1c552, v1
	v_fmac_f32_e32 v21, 0xbee1c552, v1
	s_delay_alu instid0(VALU_DEP_3)
	v_dual_fmac_f32 v4, 0xbee1c552, v1 :: v_dual_add_f32 v1, v6, v10
	v_add_f32_e32 v6, v8, v16
	v_mul_f32_e32 v41, 0x3f08b237, v44
	v_mul_f32_e32 v44, 0xbf5ff5aa, v32
	v_add_f32_e32 v8, v9, v10
	v_dual_add_f32 v9, v13, v10 :: v_dual_add_f32 v10, v14, v16
	v_fma_f32 v12, 0x3f3bfb3b, v40, -v33
	v_fma_f32 v22, 0xbf5ff5aa, v32, -v41
	s_delay_alu instid0(VALU_DEP_4) | instskip(SKIP_1) | instid1(VALU_DEP_4)
	v_sub_f32_e32 v25, v8, v0
	v_add_f32_e32 v0, v0, v8
	v_add_f32_e32 v12, v12, v16
	s_delay_alu instid0(VALU_DEP_4)
	v_fmac_f32_e32 v22, 0xbee1c552, v20
	v_fma_f32 v23, 0x3eae86e6, v35, -v44
	v_add_f32_e32 v16, v4, v9
	v_sub_f32_e32 v4, v9, v4
	v_add_f32_e32 v13, v21, v1
	v_sub_f32_e32 v1, v1, v21
	v_fmac_f32_e32 v23, 0xbee1c552, v20
	v_fmamk_f32 v17, v35, 0xbeae86e6, v41
	ds_store_2addr_b32 v66, v2, v13 offset0:2 offset1:57
	ds_store_2addr_b32 v66, v16, v25 offset0:112 offset1:167
	;; [unrolled: 1-line block ×3, first 2 shown]
	ds_store_b32 v24, v1 offset:4400
	global_wb scope:SCOPE_SE
	s_wait_dscnt 0x0
	s_barrier_signal -1
	s_barrier_wait -1
	global_inv scope:SCOPE_SE
	ds_load_2addr_b32 v[32:33], v71 offset1:55
	ds_load_2addr_b32 v[38:39], v60 offset0:129 offset1:184
	ds_load_2addr_b32 v[36:37], v64 offset0:75 offset1:130
	;; [unrolled: 1-line block ×9, first 2 shown]
	ds_load_b32 v30, v56 offset:1320
	v_fmac_f32_e32 v17, 0xbee1c552, v20
	v_add_f32_e32 v26, v22, v12
	v_sub_f32_e32 v8, v12, v22
	global_wb scope:SCOPE_SE
	s_wait_dscnt 0x0
	s_barrier_signal -1
	v_sub_f32_e32 v14, v6, v17
	v_add_f32_e32 v6, v17, v6
	v_dual_sub_f32 v20, v10, v23 :: v_dual_add_f32 v9, v23, v10
	s_barrier_wait -1
	global_inv scope:SCOPE_SE
	ds_store_2addr_b32 v71, v74, v52 offset1:55
	ds_store_2addr_b32 v71, v53, v72 offset0:110 offset1:165
	ds_store_2addr_b32 v57, v18, v3 offset0:92 offset1:147
	;; [unrolled: 1-line block ×9, first 2 shown]
	ds_store_b32 v24, v6 offset:4400
	global_wb scope:SCOPE_SE
	s_wait_dscnt 0x0
	s_barrier_signal -1
	s_barrier_wait -1
	global_inv scope:SCOPE_SE
	s_and_saveexec_b32 s0, vcc_lo
	s_cbranch_execz .LBB0_27
; %bb.26:
	v_add_nc_u32_e32 v57, 0x14a, v70
	v_mov_b32_e32 v1, 0
	v_mad_co_u64_u32 v[61:62], null, s8, v70, 0
	v_add_nc_u32_e32 v69, 0x800, v71
	s_delay_alu instid0(VALU_DEP_4) | instskip(SKIP_3) | instid1(VALU_DEP_4)
	v_lshlrev_b32_e32 v0, 1, v57
	v_mul_hi_u32 v87, 0x551c979b, v55
	v_mad_co_u64_u32 v[65:66], null, s8, v54, 0
	v_mad_co_u64_u32 v[72:73], null, s8, v58, 0
	v_lshlrev_b64_e32 v[2:3], 3, v[0:1]
	v_add_nc_u32_e32 v84, 0x1b8, v70
	v_mad_co_u64_u32 v[67:68], null, s8, v59, 0
	s_delay_alu instid0(VALU_DEP_3) | instskip(SKIP_1) | instid1(VALU_DEP_4)
	v_add_co_u32 v2, vcc_lo, s4, v2
	s_wait_alu 0xfffd
	v_add_co_ci_u32_e32 v3, vcc_lo, s5, v3, vcc_lo
	global_load_b128 v[24:27], v[2:3], off offset:2992
	v_add_nc_u32_e32 v60, 0x113, v70
	v_add_nc_u32_e32 v31, 0xa00, v71
	s_delay_alu instid0(VALU_DEP_2) | instskip(NEXT) | instid1(VALU_DEP_1)
	v_lshlrev_b32_e32 v0, 1, v60
	v_lshlrev_b64_e32 v[4:5], 3, v[0:1]
	v_lshlrev_b32_e32 v0, 1, v55
	s_delay_alu instid0(VALU_DEP_2) | instskip(SKIP_1) | instid1(VALU_DEP_3)
	v_add_co_u32 v2, vcc_lo, s4, v4
	s_wait_alu 0xfffd
	v_add_co_ci_u32_e32 v3, vcc_lo, s5, v5, vcc_lo
	s_delay_alu instid0(VALU_DEP_3)
	v_lshlrev_b64_e32 v[4:5], 3, v[0:1]
	global_load_b128 v[20:23], v[2:3], off offset:2992
	v_lshlrev_b32_e32 v0, 1, v58
	v_add_nc_u32_e32 v63, 0x1000, v71
	v_add_co_u32 v2, vcc_lo, s4, v4
	s_wait_alu 0xfffd
	v_add_co_ci_u32_e32 v3, vcc_lo, s5, v5, vcc_lo
	v_add_nc_u32_e32 v83, 0x302, v70
	global_load_b128 v[16:19], v[2:3], off offset:2992
	v_add_nc_u32_e32 v82, 0xc00, v71
	s_wait_loadcnt 0x1
	v_dual_mul_f32 v88, v36, v25 :: v_dual_mul_f32 v91, v49, v20
	v_lshlrev_b64_e32 v[2:3], 3, v[0:1]
	v_lshlrev_b32_e32 v0, 1, v59
	s_delay_alu instid0(VALU_DEP_2) | instskip(SKIP_1) | instid1(VALU_DEP_3)
	v_add_co_u32 v2, vcc_lo, s4, v2
	s_wait_alu 0xfffd
	v_add_co_ci_u32_e32 v3, vcc_lo, s5, v3, vcc_lo
	global_load_b128 v[12:15], v[2:3], off offset:2992
	v_lshlrev_b64_e32 v[2:3], 3, v[0:1]
	v_lshlrev_b32_e32 v0, 1, v54
	s_delay_alu instid0(VALU_DEP_2) | instskip(SKIP_1) | instid1(VALU_DEP_3)
	v_add_co_u32 v2, vcc_lo, s4, v2
	s_wait_alu 0xfffd
	v_add_co_ci_u32_e32 v3, vcc_lo, s5, v3, vcc_lo
	global_load_b128 v[8:11], v[2:3], off offset:2992
	v_lshlrev_b64_e32 v[2:3], 3, v[0:1]
	v_lshlrev_b32_e32 v0, 1, v70
	s_delay_alu instid0(VALU_DEP_2) | instskip(SKIP_1) | instid1(VALU_DEP_3)
	v_add_co_u32 v2, vcc_lo, s4, v2
	s_wait_alu 0xfffd
	v_add_co_ci_u32_e32 v3, vcc_lo, s5, v3, vcc_lo
	s_delay_alu instid0(VALU_DEP_3)
	v_lshlrev_b64_e32 v[0:1], 3, v[0:1]
	global_load_b128 v[4:7], v[2:3], off offset:2992
	v_add_co_u32 v0, vcc_lo, s4, v0
	s_wait_alu 0xfffd
	v_add_co_ci_u32_e32 v1, vcc_lo, s5, v1, vcc_lo
	global_load_b128 v[0:3], v[0:1], off offset:2992
	ds_load_2addr_b32 v[52:53], v31 offset0:75 offset1:130
	ds_load_2addr_b32 v[63:64], v63 offset0:21 offset1:76
	;; [unrolled: 1-line block ×4, first 2 shown]
	v_add_nc_u32_e32 v31, 0x181, v70
	v_mul_f32_e32 v69, v51, v27
	s_wait_dscnt 0x3
	v_mul_f32_e32 v89, v52, v25
	s_wait_dscnt 0x2
	v_mul_f32_e32 v90, v64, v27
	v_fma_f32 v69, v64, v26, -v69
	v_mul_f32_e32 v27, v49, v21
	s_wait_dscnt 0x1
	v_fmac_f32_e32 v91, v75, v21
	v_dual_fmac_f32 v89, v36, v24 :: v_dual_fmac_f32 v90, v51, v26
	v_mul_f32_e32 v26, v50, v23
	v_mul_f32_e32 v36, v50, v22
	v_add_nc_u32_e32 v85, 0x339, v70
	v_mad_co_u64_u32 v[80:81], null, s8, v83, 0
	s_delay_alu instid0(VALU_DEP_4) | instskip(NEXT) | instid1(VALU_DEP_4)
	v_fma_f32 v92, v63, v22, -v26
	v_fmac_f32_e32 v36, v63, v23
	v_lshrrev_b32_e32 v26, 7, v87
	v_fma_f32 v75, v75, v20, -v27
	s_wait_loadcnt 0x4
	v_mul_f32_e32 v22, v47, v19
	v_mad_co_u64_u32 v[78:79], null, s8, v31, 0
	v_mad_u32_u24 v87, 0x302, v26, v55
	v_mad_co_u64_u32 v[26:27], null, s8, v85, 0
	s_wait_dscnt 0x0
	v_dual_mul_f32 v94, v77, v19 :: v_dual_mul_f32 v21, v48, v17
	v_mov_b32_e32 v20, v62
	v_mul_f32_e32 v93, v74, v17
	v_mov_b32_e32 v17, v66
	v_fma_f32 v77, v77, v18, -v22
	v_fmac_f32_e32 v94, v47, v18
	v_mov_b32_e32 v18, v73
	v_fma_f32 v95, v74, v16, -v21
	v_mad_co_u64_u32 v[19:20], null, s9, v70, v[20:21]
	v_mov_b32_e32 v20, v79
	s_delay_alu instid0(VALU_DEP_4)
	v_mad_co_u64_u32 v[21:22], null, s9, v54, v[17:18]
	v_dual_fmac_f32 v93, v48, v16 :: v_dual_add_nc_u32 v86, 0x1ef, v70
	v_mov_b32_e32 v16, v68
	v_fma_f32 v88, v52, v24, -v88
	v_mad_co_u64_u32 v[24:25], null, s8, v84, 0
	v_mad_co_u64_u32 v[47:48], null, s9, v31, v[20:21]
	v_mov_b32_e32 v62, v19
	v_mov_b32_e32 v66, v21
	v_mad_co_u64_u32 v[48:49], null, s8, v86, 0
	v_add_nc_u32_e32 v52, 0x226, v70
	ds_load_b32 v31, v56 offset:1320
	v_mov_b32_e32 v79, v47
	v_mad_co_u64_u32 v[22:23], null, s9, v58, v[18:19]
	v_add_nc_u32_e32 v23, 0x370, v70
	v_mad_co_u64_u32 v[16:17], null, s9, v59, v[16:17]
	v_mov_b32_e32 v17, v81
	v_mov_b32_e32 v19, v27
	v_add_nc_u32_e32 v47, 0x200, v56
	v_mov_b32_e32 v73, v22
	s_delay_alu instid0(VALU_DEP_4) | instskip(SKIP_2) | instid1(VALU_DEP_2)
	v_mad_co_u64_u32 v[17:18], null, s9, v83, v[17:18]
	v_mov_b32_e32 v18, v25
	v_add_co_u32 v83, vcc_lo, s10, v28
	v_mad_co_u64_u32 v[20:21], null, s9, v84, v[18:19]
	v_mad_co_u64_u32 v[21:22], null, s8, v23, 0
	s_wait_alu 0xfffd
	v_add_co_ci_u32_e32 v84, vcc_lo, s11, v29, vcc_lo
	ds_load_2addr_b32 v[28:29], v82 offset0:57 offset1:112
	v_mov_b32_e32 v81, v17
	v_mad_co_u64_u32 v[18:19], null, s9, v85, v[19:20]
	v_mov_b32_e32 v19, v22
	v_dual_mov_b32 v25, v20 :: v_dual_mov_b32 v68, v16
	v_lshlrev_b64_e32 v[61:62], 3, v[61:62]
	s_delay_alu instid0(VALU_DEP_3) | instskip(SKIP_1) | instid1(VALU_DEP_3)
	v_mad_co_u64_u32 v[19:20], null, s9, v23, v[19:20]
	v_dual_mov_b32 v27, v18 :: v_dual_add_nc_u32 v20, 0x600, v71
	v_add_co_u32 v61, vcc_lo, v83, v61
	s_wait_alu 0xfffd
	s_delay_alu instid0(VALU_DEP_4)
	v_add_co_ci_u32_e32 v62, vcc_lo, v84, v62, vcc_lo
	ds_load_2addr_b32 v[54:55], v20 offset0:111 offset1:166
	v_mov_b32_e32 v16, v49
	v_mov_b32_e32 v22, v19
	v_lshlrev_b64_e32 v[23:24], 3, v[24:25]
	v_lshlrev_b64_e32 v[25:26], 3, v[26:27]
	s_wait_loadcnt_dscnt 0x300
	v_mul_f32_e32 v85, v55, v13
	v_mad_co_u64_u32 v[49:50], null, s9, v86, v[16:17]
	v_add_nc_u32_e32 v58, 0x3a7, v70
	v_mul_f32_e32 v20, v46, v15
	v_dual_mul_f32 v82, v76, v15 :: v_dual_mul_f32 v15, v45, v13
	v_mad_co_u64_u32 v[50:51], null, s8, v52, 0
	v_fmac_f32_e32 v85, v45, v12
	v_mad_co_u64_u32 v[16:17], null, s8, v58, 0
	v_fma_f32 v76, v76, v14, -v20
	v_fmac_f32_e32 v82, v46, v14
	v_lshlrev_b64_e32 v[13:14], 3, v[65:66]
	v_mov_b32_e32 v18, v51
	v_fma_f32 v86, v55, v12, -v15
	v_lshlrev_b64_e32 v[65:66], 3, v[72:73]
	v_lshlrev_b64_e32 v[55:56], 3, v[78:79]
	;; [unrolled: 1-line block ×3, first 2 shown]
	v_mad_co_u64_u32 v[51:52], null, s9, v52, v[18:19]
	v_mad_co_u64_u32 v[17:18], null, s9, v58, v[17:18]
	v_mad_co_u64_u32 v[58:59], null, s8, v87, 0
	ds_load_2addr_b32 v[18:19], v47 offset0:92 offset1:147
	v_lshlrev_b64_e32 v[46:47], 3, v[67:68]
	v_lshlrev_b64_e32 v[67:68], 3, v[80:81]
	;; [unrolled: 1-line block ×4, first 2 shown]
	v_add_nc_u32_e32 v52, 0x181, v87
	v_mov_b32_e32 v12, v59
	v_lshlrev_b64_e32 v[15:16], 3, v[16:17]
	s_wait_loadcnt 0x2
	v_dual_mul_f32 v78, v54, v9 :: v_dual_sub_f32 v81, v75, v92
	v_sub_f32_e32 v79, v91, v36
	v_mad_co_u64_u32 v[72:73], null, s9, v87, v[12:13]
	v_add_co_u32 v12, vcc_lo, v83, v13
	s_wait_alu 0xfffd
	v_add_co_ci_u32_e32 v13, vcc_lo, v84, v14, vcc_lo
	v_add_co_u32 v45, vcc_lo, v83, v46
	s_wait_alu 0xfffd
	v_add_co_ci_u32_e32 v46, vcc_lo, v84, v47, vcc_lo
	;; [unrolled: 3-line block ×10, first 2 shown]
	v_add_f32_e32 v51, v90, v89
	v_mad_co_u64_u32 v[63:64], null, s8, v52, 0
	v_add_co_u32 v14, vcc_lo, v83, v15
	s_wait_alu 0xfffd
	v_add_co_ci_u32_e32 v15, vcc_lo, v84, v16, vcc_lo
	v_dual_add_f32 v50, v31, v88 :: v_dual_add_f32 v49, v30, v89
	s_delay_alu instid0(VALU_DEP_4) | instskip(SKIP_2) | instid1(VALU_DEP_4)
	v_mov_b32_e32 v16, v64
	v_sub_f32_e32 v64, v88, v69
	v_fmac_f32_e32 v30, -0.5, v51
	v_dual_add_f32 v50, v69, v50 :: v_dual_add_nc_u32 v51, 0x400, v71
	s_delay_alu instid0(VALU_DEP_4)
	v_mad_co_u64_u32 v[16:17], null, s9, v52, v[16:17]
	v_dual_add_f32 v52, v69, v88 :: v_dual_mul_f32 v69, v44, v9
	v_sub_f32_e32 v17, v89, v90
	v_mul_f32_e32 v9, v41, v11
	v_mov_b32_e32 v59, v72
	v_add_f32_e32 v49, v90, v49
	v_fma_f32 v54, v54, v8, -v69
	v_mul_f32_e32 v69, v29, v11
	v_fma_f32 v80, v29, v10, -v9
	v_add_f32_e32 v29, v91, v36
	s_delay_alu instid0(VALU_DEP_3)
	v_fmac_f32_e32 v69, v41, v10
	v_add_f32_e32 v41, v43, v91
	v_fmac_f32_e32 v31, -0.5, v52
	v_fmac_f32_e32 v78, v44, v8
	v_add_f32_e32 v8, v75, v92
	s_wait_dscnt 0x0
	v_add_f32_e32 v10, v75, v19
	ds_load_2addr_b32 v[51:52], v51 offset0:129 offset1:184
	v_fmamk_f32 v9, v17, 0xbf5db3d7, v31
	v_fmac_f32_e32 v31, 0x3f5db3d7, v17
	v_add_f32_e32 v17, v95, v77
	v_fma_f32 v44, -0.5, v8, v19
	v_add_f32_e32 v8, v93, v94
	v_fma_f32 v43, -0.5, v29, v43
	;; [unrolled: 2-line block ×3, first 2 shown]
	v_add_f32_e32 v29, v42, v93
	v_dual_add_f32 v11, v92, v10 :: v_dual_add_f32 v10, v41, v36
	v_fma_f32 v17, -0.5, v8, v42
	ds_load_2addr_b32 v[41:42], v71 offset0:110 offset1:165
	v_fmamk_f32 v8, v64, 0x3f5db3d7, v30
	v_dual_fmac_f32 v30, 0xbf5db3d7, v64 :: v_dual_add_f32 v73, v19, v77
	s_wait_loadcnt 0x1
	v_mul_f32_e32 v64, v40, v7
	v_add_f32_e32 v72, v29, v94
	ds_load_2addr_b32 v[74:75], v71 offset1:55
	v_sub_f32_e32 v71, v95, v77
	v_mul_f32_e32 v77, v28, v7
	v_fma_f32 v64, v28, v6, -v64
	v_fmamk_f32 v29, v79, 0x3f5db3d7, v44
	v_dual_fmac_f32 v44, 0xbf5db3d7, v79 :: v_dual_mul_f32 v7, v39, v5
	s_wait_dscnt 0x2
	v_dual_fmamk_f32 v28, v81, 0xbf5db3d7, v43 :: v_dual_mul_f32 v79, v52, v5
	v_dual_sub_f32 v36, v93, v94 :: v_dual_add_nc_u32 v19, 0x302, v87
	v_fmac_f32_e32 v43, 0x3f5db3d7, v81
	v_fmac_f32_e32 v77, v40, v6
	v_fma_f32 v81, v52, v4, -v7
	v_fmac_f32_e32 v79, v39, v4
	s_wait_dscnt 0x1
	v_dual_add_f32 v4, v35, v85 :: v_dual_add_f32 v7, v42, v86
	s_wait_loadcnt 0x0
	v_mul_f32_e32 v52, v38, v1
	v_mad_co_u64_u32 v[5:6], null, s8, v19, 0
	v_sub_f32_e32 v87, v85, v82
	v_add_f32_e32 v85, v85, v82
	v_dual_add_f32 v39, v4, v82 :: v_dual_add_f32 v40, v7, v76
	v_add_f32_e32 v4, v86, v76
	v_dual_sub_f32 v7, v86, v76 :: v_dual_mul_f32 v76, v51, v1
	v_fma_f32 v82, v51, v0, -v52
	v_mul_f32_e32 v1, v37, v3
	v_fmamk_f32 v51, v71, 0x3f5db3d7, v17
	v_fmac_f32_e32 v17, 0xbf5db3d7, v71
	v_dual_mul_f32 v71, v53, v3 :: v_dual_fmamk_f32 v52, v36, 0xbf5db3d7, v18
	v_fmac_f32_e32 v18, 0x3f5db3d7, v36
	v_fma_f32 v36, -0.5, v4, v42
	v_fma_f32 v35, -0.5, v85, v35
	v_lshlrev_b64_e32 v[3:4], 3, v[58:59]
	v_fmac_f32_e32 v76, v38, v0
	v_add_f32_e32 v0, v54, v80
	v_fma_f32 v85, v53, v2, -v1
	v_dual_mov_b32 v1, v6 :: v_dual_fmamk_f32 v38, v87, 0xbf5db3d7, v36
	v_add_f32_e32 v6, v78, v69
	v_add_f32_e32 v53, v34, v78
	v_sub_f32_e32 v58, v78, v69
	v_dual_sub_f32 v78, v54, v80 :: v_dual_fmac_f32 v71, v37, v2
	v_fmac_f32_e32 v36, 0x3f5db3d7, v87
	v_dual_add_f32 v2, v41, v54 :: v_dual_fmamk_f32 v37, v7, 0x3f5db3d7, v35
	v_fmac_f32_e32 v35, 0xbf5db3d7, v7
	v_fma_f32 v7, -0.5, v0, v41
	v_fma_f32 v6, -0.5, v6, v34
	s_delay_alu instid0(VALU_DEP_4)
	v_add_f32_e32 v42, v2, v80
	s_wait_dscnt 0x0
	v_add_f32_e32 v2, v75, v81
	v_add_f32_e32 v0, v81, v64
	;; [unrolled: 1-line block ×3, first 2 shown]
	v_dual_add_f32 v34, v33, v79 :: v_dual_sub_f32 v69, v79, v77
	v_dual_add_f32 v79, v79, v77 :: v_dual_sub_f32 v86, v81, v64
	v_add_f32_e32 v54, v2, v64
	s_delay_alu instid0(VALU_DEP_3)
	v_dual_add_f32 v53, v34, v77 :: v_dual_add_f32 v64, v76, v71
	v_fmamk_f32 v34, v58, 0xbf5db3d7, v7
	v_dual_add_f32 v2, v82, v85 :: v_dual_fmac_f32 v7, 0x3f5db3d7, v58
	v_fma_f32 v59, -0.5, v0, v75
	v_fma_f32 v58, -0.5, v79, v33
	v_dual_add_f32 v0, v74, v82 :: v_dual_add_f32 v79, v32, v76
	v_dual_fmamk_f32 v33, v78, 0x3f5db3d7, v6 :: v_dual_sub_f32 v80, v76, v71
	v_fma_f32 v75, -0.5, v2, v74
	v_fma_f32 v74, -0.5, v64, v32
	s_delay_alu instid0(VALU_DEP_4) | instskip(SKIP_1) | instid1(VALU_DEP_4)
	v_dual_add_f32 v76, v79, v71 :: v_dual_fmamk_f32 v79, v69, 0xbf5db3d7, v59
	v_dual_fmac_f32 v6, 0xbf5db3d7, v78 :: v_dual_add_f32 v77, v0, v85
	v_dual_sub_f32 v78, v82, v85 :: v_dual_fmamk_f32 v81, v80, 0xbf5db3d7, v75
	v_mad_co_u64_u32 v[0:1], null, s9, v19, v[1:2]
	v_mad_co_u64_u32 v[1:2], null, s8, v60, 0
	s_delay_alu instid0(VALU_DEP_3)
	v_dual_fmac_f32 v75, 0x3f5db3d7, v80 :: v_dual_fmamk_f32 v80, v78, 0x3f5db3d7, v74
	v_fmac_f32_e32 v59, 0x3f5db3d7, v69
	v_fmac_f32_e32 v74, 0xbf5db3d7, v78
	v_mov_b32_e32 v64, v16
	v_add_co_u32 v3, vcc_lo, v83, v3
	v_fmamk_f32 v78, v86, 0x3f5db3d7, v58
	v_fmac_f32_e32 v58, 0xbf5db3d7, v86
	s_clause 0xa
	global_store_b64 v[61:62], v[76:77], off
	global_store_b64 v[55:56], v[74:75], off
	;; [unrolled: 1-line block ×11, first 2 shown]
	s_wait_alu 0xfffd
	v_add_co_ci_u32_e32 v4, vcc_lo, v84, v4, vcc_lo
	v_mov_b32_e32 v6, v0
	v_dual_mov_b32 v0, v2 :: v_dual_add_nc_u32 v7, 0x294, v70
	v_lshlrev_b64_e32 v[12:13], 3, v[63:64]
	s_clause 0x1
	global_store_b64 v[14:15], v[37:38], off
	global_store_b64 v[3:4], v[72:73], off
	v_add_nc_u32_e32 v15, 0x415, v70
	v_lshlrev_b64_e32 v[2:3], 3, v[5:6]
	v_mad_co_u64_u32 v[4:5], null, s9, v60, v[0:1]
	v_mul_hi_u32 v0, 0x551c979b, v57
	v_add_co_u32 v5, vcc_lo, v83, v12
	s_wait_alu 0xfffd
	v_add_co_ci_u32_e32 v6, vcc_lo, v84, v13, vcc_lo
	v_add_co_u32 v12, vcc_lo, v83, v2
	s_wait_alu 0xfffd
	v_add_co_ci_u32_e32 v13, vcc_lo, v84, v3, vcc_lo
	v_mov_b32_e32 v2, v4
	v_mad_co_u64_u32 v[3:4], null, s8, v7, 0
	v_lshrrev_b32_e32 v14, 7, v0
	global_store_b64 v[5:6], v[17:18], off
	v_mad_co_u64_u32 v[5:6], null, s8, v15, 0
	v_lshlrev_b64_e32 v[0:1], 3, v[1:2]
	v_mad_u32_u24 v17, 0x302, v14, v57
	v_mov_b32_e32 v2, v4
	global_store_b64 v[12:13], v[51:52], off
	v_mad_co_u64_u32 v[12:13], null, s8, v17, 0
	v_mov_b32_e32 v4, v6
	v_mad_co_u64_u32 v[6:7], null, s9, v7, v[2:3]
	v_add_nc_u32_e32 v7, 0x181, v17
	v_add_co_u32 v0, vcc_lo, v83, v0
	s_delay_alu instid0(VALU_DEP_4) | instskip(SKIP_1) | instid1(VALU_DEP_4)
	v_mad_co_u64_u32 v[14:15], null, s9, v15, v[4:5]
	v_mov_b32_e32 v2, v13
	v_mad_co_u64_u32 v[15:16], null, s8, v7, 0
	v_add_nc_u32_e32 v20, 0x302, v17
	s_wait_alu 0xfffd
	v_add_co_ci_u32_e32 v1, vcc_lo, v84, v1, vcc_lo
	v_mov_b32_e32 v4, v6
	v_mad_co_u64_u32 v[17:18], null, s9, v17, v[2:3]
	v_mad_co_u64_u32 v[18:19], null, s8, v20, 0
	global_store_b64 v[0:1], v[10:11], off
	v_lshlrev_b64_e32 v[1:2], 3, v[3:4]
	v_mov_b32_e32 v0, v16
	v_dual_mov_b32 v6, v14 :: v_dual_mov_b32 v13, v17
	s_delay_alu instid0(VALU_DEP_2) | instskip(SKIP_2) | instid1(VALU_DEP_4)
	v_mad_co_u64_u32 v[3:4], null, s9, v7, v[0:1]
	v_mov_b32_e32 v0, v19
	v_add_co_u32 v1, vcc_lo, v83, v1
	v_lshlrev_b64_e32 v[4:5], 3, v[5:6]
	v_lshlrev_b64_e32 v[10:11], 3, v[12:13]
	s_wait_alu 0xfffd
	v_add_co_ci_u32_e32 v2, vcc_lo, v84, v2, vcc_lo
	v_mad_co_u64_u32 v[6:7], null, s9, v20, v[0:1]
	v_mov_b32_e32 v16, v3
	v_add_co_u32 v3, vcc_lo, v83, v4
	s_wait_alu 0xfffd
	v_add_co_ci_u32_e32 v4, vcc_lo, v84, v5, vcc_lo
	s_delay_alu instid0(VALU_DEP_3) | instskip(SKIP_4) | instid1(VALU_DEP_3)
	v_lshlrev_b64_e32 v[12:13], 3, v[15:16]
	v_mov_b32_e32 v19, v6
	v_add_co_u32 v5, vcc_lo, v83, v10
	s_wait_alu 0xfffd
	v_add_co_ci_u32_e32 v6, vcc_lo, v84, v11, vcc_lo
	v_lshlrev_b64_e32 v[10:11], 3, v[18:19]
	v_add_co_u32 v12, vcc_lo, v83, v12
	s_wait_alu 0xfffd
	v_add_co_ci_u32_e32 v13, vcc_lo, v84, v13, vcc_lo
	s_delay_alu instid0(VALU_DEP_3)
	v_add_co_u32 v10, vcc_lo, v83, v10
	s_wait_alu 0xfffd
	v_add_co_ci_u32_e32 v11, vcc_lo, v84, v11, vcc_lo
	s_clause 0x4
	global_store_b64 v[1:2], v[28:29], off
	global_store_b64 v[3:4], v[43:44], off
	;; [unrolled: 1-line block ×5, first 2 shown]
.LBB0_27:
	s_nop 0
	s_sendmsg sendmsg(MSG_DEALLOC_VGPRS)
	s_endpgm
	.section	.rodata,"a",@progbits
	.p2align	6, 0x0
	.amdhsa_kernel fft_rtc_back_len1155_factors_11_5_7_3_wgs_55_tpt_55_halfLds_sp_ip_CI_sbrr_dirReg
		.amdhsa_group_segment_fixed_size 0
		.amdhsa_private_segment_fixed_size 0
		.amdhsa_kernarg_size 88
		.amdhsa_user_sgpr_count 2
		.amdhsa_user_sgpr_dispatch_ptr 0
		.amdhsa_user_sgpr_queue_ptr 0
		.amdhsa_user_sgpr_kernarg_segment_ptr 1
		.amdhsa_user_sgpr_dispatch_id 0
		.amdhsa_user_sgpr_private_segment_size 0
		.amdhsa_wavefront_size32 1
		.amdhsa_uses_dynamic_stack 0
		.amdhsa_enable_private_segment 0
		.amdhsa_system_sgpr_workgroup_id_x 1
		.amdhsa_system_sgpr_workgroup_id_y 0
		.amdhsa_system_sgpr_workgroup_id_z 0
		.amdhsa_system_sgpr_workgroup_info 0
		.amdhsa_system_vgpr_workitem_id 0
		.amdhsa_next_free_vgpr 107
		.amdhsa_next_free_sgpr 35
		.amdhsa_reserve_vcc 1
		.amdhsa_float_round_mode_32 0
		.amdhsa_float_round_mode_16_64 0
		.amdhsa_float_denorm_mode_32 3
		.amdhsa_float_denorm_mode_16_64 3
		.amdhsa_fp16_overflow 0
		.amdhsa_workgroup_processor_mode 1
		.amdhsa_memory_ordered 1
		.amdhsa_forward_progress 0
		.amdhsa_round_robin_scheduling 0
		.amdhsa_exception_fp_ieee_invalid_op 0
		.amdhsa_exception_fp_denorm_src 0
		.amdhsa_exception_fp_ieee_div_zero 0
		.amdhsa_exception_fp_ieee_overflow 0
		.amdhsa_exception_fp_ieee_underflow 0
		.amdhsa_exception_fp_ieee_inexact 0
		.amdhsa_exception_int_div_zero 0
	.end_amdhsa_kernel
	.text
.Lfunc_end0:
	.size	fft_rtc_back_len1155_factors_11_5_7_3_wgs_55_tpt_55_halfLds_sp_ip_CI_sbrr_dirReg, .Lfunc_end0-fft_rtc_back_len1155_factors_11_5_7_3_wgs_55_tpt_55_halfLds_sp_ip_CI_sbrr_dirReg
                                        ; -- End function
	.section	.AMDGPU.csdata,"",@progbits
; Kernel info:
; codeLenInByte = 16800
; NumSgprs: 37
; NumVgprs: 107
; ScratchSize: 0
; MemoryBound: 0
; FloatMode: 240
; IeeeMode: 1
; LDSByteSize: 0 bytes/workgroup (compile time only)
; SGPRBlocks: 4
; VGPRBlocks: 13
; NumSGPRsForWavesPerEU: 37
; NumVGPRsForWavesPerEU: 107
; Occupancy: 12
; WaveLimiterHint : 1
; COMPUTE_PGM_RSRC2:SCRATCH_EN: 0
; COMPUTE_PGM_RSRC2:USER_SGPR: 2
; COMPUTE_PGM_RSRC2:TRAP_HANDLER: 0
; COMPUTE_PGM_RSRC2:TGID_X_EN: 1
; COMPUTE_PGM_RSRC2:TGID_Y_EN: 0
; COMPUTE_PGM_RSRC2:TGID_Z_EN: 0
; COMPUTE_PGM_RSRC2:TIDIG_COMP_CNT: 0
	.text
	.p2alignl 7, 3214868480
	.fill 96, 4, 3214868480
	.type	__hip_cuid_9155bc6e15a5a296,@object ; @__hip_cuid_9155bc6e15a5a296
	.section	.bss,"aw",@nobits
	.globl	__hip_cuid_9155bc6e15a5a296
__hip_cuid_9155bc6e15a5a296:
	.byte	0                               ; 0x0
	.size	__hip_cuid_9155bc6e15a5a296, 1

	.ident	"AMD clang version 19.0.0git (https://github.com/RadeonOpenCompute/llvm-project roc-6.4.0 25133 c7fe45cf4b819c5991fe208aaa96edf142730f1d)"
	.section	".note.GNU-stack","",@progbits
	.addrsig
	.addrsig_sym __hip_cuid_9155bc6e15a5a296
	.amdgpu_metadata
---
amdhsa.kernels:
  - .args:
      - .actual_access:  read_only
        .address_space:  global
        .offset:         0
        .size:           8
        .value_kind:     global_buffer
      - .offset:         8
        .size:           8
        .value_kind:     by_value
      - .actual_access:  read_only
        .address_space:  global
        .offset:         16
        .size:           8
        .value_kind:     global_buffer
      - .actual_access:  read_only
        .address_space:  global
        .offset:         24
        .size:           8
        .value_kind:     global_buffer
      - .offset:         32
        .size:           8
        .value_kind:     by_value
      - .actual_access:  read_only
        .address_space:  global
        .offset:         40
        .size:           8
        .value_kind:     global_buffer
      - .actual_access:  read_only
        .address_space:  global
        .offset:         48
        .size:           8
        .value_kind:     global_buffer
      - .offset:         56
        .size:           4
        .value_kind:     by_value
      - .actual_access:  read_only
        .address_space:  global
        .offset:         64
        .size:           8
        .value_kind:     global_buffer
      - .actual_access:  read_only
        .address_space:  global
        .offset:         72
        .size:           8
        .value_kind:     global_buffer
      - .address_space:  global
        .offset:         80
        .size:           8
        .value_kind:     global_buffer
    .group_segment_fixed_size: 0
    .kernarg_segment_align: 8
    .kernarg_segment_size: 88
    .language:       OpenCL C
    .language_version:
      - 2
      - 0
    .max_flat_workgroup_size: 55
    .name:           fft_rtc_back_len1155_factors_11_5_7_3_wgs_55_tpt_55_halfLds_sp_ip_CI_sbrr_dirReg
    .private_segment_fixed_size: 0
    .sgpr_count:     37
    .sgpr_spill_count: 0
    .symbol:         fft_rtc_back_len1155_factors_11_5_7_3_wgs_55_tpt_55_halfLds_sp_ip_CI_sbrr_dirReg.kd
    .uniform_work_group_size: 1
    .uses_dynamic_stack: false
    .vgpr_count:     107
    .vgpr_spill_count: 0
    .wavefront_size: 32
    .workgroup_processor_mode: 1
amdhsa.target:   amdgcn-amd-amdhsa--gfx1201
amdhsa.version:
  - 1
  - 2
...

	.end_amdgpu_metadata
